;; amdgpu-corpus repo=ggml-org/llama.cpp kind=compiled arch=gfx906 opt=O3
	.amdgcn_target "amdgcn-amd-amdhsa--gfx906"
	.amdhsa_code_object_version 6
	.section	.text._ZL8norm_f32ILi32EEvPKfPfilllf,"axG",@progbits,_ZL8norm_f32ILi32EEvPKfPfilllf,comdat
	.globl	_ZL8norm_f32ILi32EEvPKfPfilllf  ; -- Begin function _ZL8norm_f32ILi32EEvPKfPfilllf
	.p2align	8
	.type	_ZL8norm_f32ILi32EEvPKfPfilllf,@function
_ZL8norm_f32ILi32EEvPKfPfilllf:         ; @_ZL8norm_f32ILi32EEvPKfPfilllf
; %bb.0:
	s_load_dwordx4 s[12:15], s[4:5], 0x0
	s_load_dword s9, s[4:5], 0x10
	s_load_dwordx4 s[20:23], s[4:5], 0x18
	s_load_dwordx2 s[10:11], s[4:5], 0x28
	s_load_dwordx2 s[2:3], s[4:5], 0x38
	s_ashr_i32 s16, s8, 31
	s_ashr_i32 s17, s7, 31
	;; [unrolled: 1-line block ×3, first 2 shown]
	s_waitcnt lgkmcnt(0)
	v_cmp_gt_i32_e64 s[0:1], s9, v0
	v_mov_b32_e32 v4, 0
	s_mul_i32 s30, s10, s16
	s_mul_hi_u32 s33, s10, s8
	s_mul_i32 s27, s11, s8
	s_mul_i32 s16, s10, s8
	s_mul_i32 s29, s22, s17
	s_mul_hi_u32 s31, s22, s7
	s_mul_i32 s28, s23, s7
	s_mul_i32 s18, s22, s7
	;; [unrolled: 4-line block ×3, first 2 shown]
	v_lshlrev_b32_e32 v3, 2, v0
	v_mov_b32_e32 v5, 0
	s_and_saveexec_b64 s[20:21], s[0:1]
	s_cbranch_execz .LBB0_4
; %bb.1:
	s_add_i32 s11, s33, s30
	s_add_i32 s17, s11, s27
	;; [unrolled: 1-line block ×4, first 2 shown]
	s_lshl_b64 s[22:23], s[16:17], 2
	s_lshl_b64 s[34:35], s[18:19], 2
	s_add_u32 s17, s22, s34
	s_addc_u32 s19, s23, s35
	s_add_i32 s11, s25, s24
	s_add_i32 s11, s11, s26
	s_lshl_b64 s[22:23], s[10:11], 2
	s_add_u32 s11, s17, s22
	s_addc_u32 s17, s19, s23
	s_add_u32 s11, s12, s11
	s_addc_u32 s17, s13, s17
	v_mov_b32_e32 v2, s17
	v_add_co_u32_e32 v1, vcc, s11, v3
	v_mov_b32_e32 v4, 0
	v_addc_co_u32_e32 v2, vcc, 0, v2, vcc
	s_mov_b64 s[22:23], 0
	v_mov_b32_e32 v5, 0
	v_mov_b32_e32 v6, v0
.LBB0_2:                                ; =>This Inner Loop Header: Depth=1
	global_load_dword v7, v[1:2], off
	v_add_co_u32_e32 v1, vcc, 0x80, v1
	v_add_u32_e32 v6, 32, v6
	v_addc_co_u32_e32 v2, vcc, 0, v2, vcc
	v_cmp_le_i32_e32 vcc, s9, v6
	s_or_b64 s[22:23], vcc, s[22:23]
	s_waitcnt vmcnt(0)
	v_add_f32_e32 v4, v4, v7
	v_fmac_f32_e32 v5, v7, v7
	s_andn2_b64 exec, exec, s[22:23]
	s_cbranch_execnz .LBB0_2
; %bb.3:
	s_or_b64 exec, exec, s[22:23]
.LBB0_4:
	s_or_b64 exec, exec, s[20:21]
	v_mbcnt_lo_u32_b32 v1, -1, 0
	v_mbcnt_hi_u32_b32 v6, -1, v1
	v_and_b32_e32 v1, 0x60, v6
	v_add_u32_e32 v7, 32, v1
	v_xor_b32_e32 v1, 16, v6
	v_cmp_lt_i32_e32 vcc, v1, v7
	v_cndmask_b32_e32 v1, v6, v1, vcc
	v_lshlrev_b32_e32 v1, 2, v1
	ds_bpermute_b32 v2, v1, v4
	ds_bpermute_b32 v1, v1, v5
	s_waitcnt lgkmcnt(1)
	v_add_f32_e32 v2, v4, v2
	v_xor_b32_e32 v4, 8, v6
	v_cmp_lt_i32_e32 vcc, v4, v7
	v_cndmask_b32_e32 v4, v6, v4, vcc
	s_waitcnt lgkmcnt(0)
	v_add_f32_e32 v1, v5, v1
	v_lshlrev_b32_e32 v4, 2, v4
	ds_bpermute_b32 v5, v4, v2
	ds_bpermute_b32 v4, v4, v1
	s_waitcnt lgkmcnt(1)
	v_add_f32_e32 v2, v2, v5
	s_waitcnt lgkmcnt(0)
	v_add_f32_e32 v1, v1, v4
	v_xor_b32_e32 v4, 4, v6
	v_cmp_lt_i32_e32 vcc, v4, v7
	v_cndmask_b32_e32 v4, v6, v4, vcc
	v_lshlrev_b32_e32 v4, 2, v4
	ds_bpermute_b32 v5, v4, v2
	ds_bpermute_b32 v4, v4, v1
	s_waitcnt lgkmcnt(1)
	v_add_f32_e32 v2, v2, v5
	s_waitcnt lgkmcnt(0)
	v_add_f32_e32 v4, v1, v4
	v_xor_b32_e32 v1, 2, v6
	v_cmp_lt_i32_e32 vcc, v1, v7
	v_cndmask_b32_e32 v1, v6, v1, vcc
	;; [unrolled: 10-line block ×3, first 2 shown]
	v_lshlrev_b32_e32 v5, 2, v4
	ds_bpermute_b32 v4, v5, v1
	ds_bpermute_b32 v5, v5, v2
	s_and_saveexec_b64 s[20:21], s[0:1]
	s_cbranch_execz .LBB0_7
; %bb.5:
	v_cvt_f32_i32_e32 v6, s9
	s_waitcnt lgkmcnt(1)
	v_add_f32_e32 v1, v1, v4
	s_waitcnt lgkmcnt(0)
	v_add_f32_e32 v2, v2, v5
	s_load_dword s11, s[4:5], 0x30
	v_div_scale_f32 v4, s[0:1], v6, v6, v1
	v_div_scale_f32 v5, s[0:1], v6, v6, v2
	v_div_scale_f32 v7, vcc, v1, v6, v1
	v_div_scale_f32 v8, s[0:1], v2, v6, v2
	s_mov_b32 s20, 0x800000
	v_rcp_f32_e32 v9, v4
	v_rcp_f32_e32 v10, v5
	v_fma_f32 v11, -v4, v9, 1.0
	v_fmac_f32_e32 v9, v11, v9
	v_fma_f32 v12, -v5, v10, 1.0
	v_fmac_f32_e32 v10, v12, v10
	v_mul_f32_e32 v11, v7, v9
	v_mul_f32_e32 v12, v8, v10
	v_fma_f32 v13, -v4, v11, v7
	v_fma_f32 v14, -v5, v12, v8
	v_fmac_f32_e32 v11, v13, v9
	v_fmac_f32_e32 v12, v14, v10
	v_fma_f32 v4, -v4, v11, v7
	v_fma_f32 v5, -v5, v12, v8
	v_div_fmas_f32 v4, v4, v9, v11
	s_mov_b64 vcc, s[0:1]
	v_div_fmas_f32 v7, v5, v10, v12
	s_mul_i32 s0, s3, s8
	s_add_i32 s0, s0, s7
	s_mul_i32 s4, s0, s2
	s_add_i32 s1, s33, s30
	s_add_i32 s3, s31, s29
	;; [unrolled: 1-line block ×5, first 2 shown]
	s_mul_i32 s4, s4, s9
	s_lshl_b64 s[0:1], s[16:17], 2
	s_lshl_b64 s[2:3], s[18:19], 2
	s_ashr_i32 s5, s4, 31
	s_add_u32 s2, s0, s2
	v_div_fixup_f32 v5, v4, v6, v1
	s_addc_u32 s3, s1, s3
	v_div_fixup_f32 v1, v7, v6, v2
	v_fma_f32 v1, -v5, v5, v1
	s_waitcnt lgkmcnt(0)
	v_add_f32_e32 v1, s11, v1
	v_mul_f32_e32 v2, 0x4b800000, v1
	v_cmp_gt_f32_e32 vcc, s20, v1
	s_add_i32 s0, s25, s24
	v_cndmask_b32_e32 v1, v1, v2, vcc
	s_add_i32 s11, s0, s26
	v_rsq_f32_e32 v1, v1
	s_lshl_b64 s[0:1], s[10:11], 2
	s_add_u32 s0, s2, s0
	s_addc_u32 s1, s3, s1
	s_add_u32 s0, s12, s0
	v_mul_f32_e32 v2, 0x45800000, v1
	s_addc_u32 s1, s13, s1
	v_cndmask_b32_e32 v6, v1, v2, vcc
	v_mov_b32_e32 v2, s1
	v_add_co_u32_e32 v1, vcc, s0, v3
	s_lshl_b64 s[0:1], s[4:5], 2
	s_add_u32 s0, s14, s0
	v_addc_co_u32_e32 v2, vcc, 0, v2, vcc
	s_addc_u32 s1, s15, s1
	v_mov_b32_e32 v4, s1
	v_add_co_u32_e32 v3, vcc, s0, v3
	v_addc_co_u32_e32 v4, vcc, 0, v4, vcc
	s_mov_b64 s[0:1], 0
.LBB0_6:                                ; =>This Inner Loop Header: Depth=1
	global_load_dword v7, v[1:2], off
	v_add_co_u32_e32 v1, vcc, 0x80, v1
	v_add_u32_e32 v0, 32, v0
	v_addc_co_u32_e32 v2, vcc, 0, v2, vcc
	v_cmp_le_i32_e32 vcc, s9, v0
	s_or_b64 s[0:1], vcc, s[0:1]
	s_waitcnt vmcnt(0)
	v_sub_f32_e32 v7, v7, v5
	v_mul_f32_e32 v7, v6, v7
	global_store_dword v[3:4], v7, off
	v_add_co_u32_e32 v3, vcc, 0x80, v3
	v_addc_co_u32_e32 v4, vcc, 0, v4, vcc
	s_andn2_b64 exec, exec, s[0:1]
	s_cbranch_execnz .LBB0_6
.LBB0_7:
	s_endpgm
	.section	.rodata,"a",@progbits
	.p2align	6, 0x0
	.amdhsa_kernel _ZL8norm_f32ILi32EEvPKfPfilllf
		.amdhsa_group_segment_fixed_size 0
		.amdhsa_private_segment_fixed_size 0
		.amdhsa_kernarg_size 312
		.amdhsa_user_sgpr_count 6
		.amdhsa_user_sgpr_private_segment_buffer 1
		.amdhsa_user_sgpr_dispatch_ptr 0
		.amdhsa_user_sgpr_queue_ptr 0
		.amdhsa_user_sgpr_kernarg_segment_ptr 1
		.amdhsa_user_sgpr_dispatch_id 0
		.amdhsa_user_sgpr_flat_scratch_init 0
		.amdhsa_user_sgpr_private_segment_size 0
		.amdhsa_uses_dynamic_stack 0
		.amdhsa_system_sgpr_private_segment_wavefront_offset 0
		.amdhsa_system_sgpr_workgroup_id_x 1
		.amdhsa_system_sgpr_workgroup_id_y 1
		.amdhsa_system_sgpr_workgroup_id_z 1
		.amdhsa_system_sgpr_workgroup_info 0
		.amdhsa_system_vgpr_workitem_id 0
		.amdhsa_next_free_vgpr 15
		.amdhsa_next_free_sgpr 36
		.amdhsa_reserve_vcc 1
		.amdhsa_reserve_flat_scratch 0
		.amdhsa_float_round_mode_32 0
		.amdhsa_float_round_mode_16_64 0
		.amdhsa_float_denorm_mode_32 3
		.amdhsa_float_denorm_mode_16_64 3
		.amdhsa_dx10_clamp 1
		.amdhsa_ieee_mode 1
		.amdhsa_fp16_overflow 0
		.amdhsa_exception_fp_ieee_invalid_op 0
		.amdhsa_exception_fp_denorm_src 0
		.amdhsa_exception_fp_ieee_div_zero 0
		.amdhsa_exception_fp_ieee_overflow 0
		.amdhsa_exception_fp_ieee_underflow 0
		.amdhsa_exception_fp_ieee_inexact 0
		.amdhsa_exception_int_div_zero 0
	.end_amdhsa_kernel
	.section	.text._ZL8norm_f32ILi32EEvPKfPfilllf,"axG",@progbits,_ZL8norm_f32ILi32EEvPKfPfilllf,comdat
.Lfunc_end0:
	.size	_ZL8norm_f32ILi32EEvPKfPfilllf, .Lfunc_end0-_ZL8norm_f32ILi32EEvPKfPfilllf
                                        ; -- End function
	.set _ZL8norm_f32ILi32EEvPKfPfilllf.num_vgpr, 15
	.set _ZL8norm_f32ILi32EEvPKfPfilllf.num_agpr, 0
	.set _ZL8norm_f32ILi32EEvPKfPfilllf.numbered_sgpr, 36
	.set _ZL8norm_f32ILi32EEvPKfPfilllf.num_named_barrier, 0
	.set _ZL8norm_f32ILi32EEvPKfPfilllf.private_seg_size, 0
	.set _ZL8norm_f32ILi32EEvPKfPfilllf.uses_vcc, 1
	.set _ZL8norm_f32ILi32EEvPKfPfilllf.uses_flat_scratch, 0
	.set _ZL8norm_f32ILi32EEvPKfPfilllf.has_dyn_sized_stack, 0
	.set _ZL8norm_f32ILi32EEvPKfPfilllf.has_recursion, 0
	.set _ZL8norm_f32ILi32EEvPKfPfilllf.has_indirect_call, 0
	.section	.AMDGPU.csdata,"",@progbits
; Kernel info:
; codeLenInByte = 972
; TotalNumSgprs: 40
; NumVgprs: 15
; ScratchSize: 0
; MemoryBound: 0
; FloatMode: 240
; IeeeMode: 1
; LDSByteSize: 0 bytes/workgroup (compile time only)
; SGPRBlocks: 4
; VGPRBlocks: 3
; NumSGPRsForWavesPerEU: 40
; NumVGPRsForWavesPerEU: 15
; Occupancy: 10
; WaveLimiterHint : 0
; COMPUTE_PGM_RSRC2:SCRATCH_EN: 0
; COMPUTE_PGM_RSRC2:USER_SGPR: 6
; COMPUTE_PGM_RSRC2:TRAP_HANDLER: 0
; COMPUTE_PGM_RSRC2:TGID_X_EN: 1
; COMPUTE_PGM_RSRC2:TGID_Y_EN: 1
; COMPUTE_PGM_RSRC2:TGID_Z_EN: 1
; COMPUTE_PGM_RSRC2:TIDIG_COMP_CNT: 0
	.section	.text._ZL8norm_f32ILi1024EEvPKfPfilllf,"axG",@progbits,_ZL8norm_f32ILi1024EEvPKfPfilllf,comdat
	.globl	_ZL8norm_f32ILi1024EEvPKfPfilllf ; -- Begin function _ZL8norm_f32ILi1024EEvPKfPfilllf
	.p2align	8
	.type	_ZL8norm_f32ILi1024EEvPKfPfilllf,@function
_ZL8norm_f32ILi1024EEvPKfPfilllf:       ; @_ZL8norm_f32ILi1024EEvPKfPfilllf
; %bb.0:
	s_load_dwordx4 s[12:15], s[4:5], 0x0
	s_load_dword s9, s[4:5], 0x10
	s_load_dwordx4 s[20:23], s[4:5], 0x18
	s_load_dwordx2 s[10:11], s[4:5], 0x28
	s_load_dwordx2 s[2:3], s[4:5], 0x38
	s_ashr_i32 s16, s8, 31
	s_ashr_i32 s17, s7, 31
	;; [unrolled: 1-line block ×3, first 2 shown]
	s_waitcnt lgkmcnt(0)
	v_cmp_gt_i32_e64 s[0:1], s9, v0
	v_mov_b32_e32 v4, 0
	s_mul_i32 s30, s10, s16
	s_mul_hi_u32 s33, s10, s8
	s_mul_i32 s27, s11, s8
	s_mul_i32 s16, s10, s8
	s_mul_i32 s29, s22, s17
	s_mul_hi_u32 s31, s22, s7
	s_mul_i32 s28, s23, s7
	s_mul_i32 s18, s22, s7
	s_mul_i32 s24, s20, s19
	s_mul_hi_u32 s25, s20, s6
	s_mul_i32 s26, s21, s6
	s_mul_i32 s10, s20, s6
	v_lshlrev_b32_e32 v3, 2, v0
	v_mov_b32_e32 v5, 0
	s_and_saveexec_b64 s[20:21], s[0:1]
	s_cbranch_execz .LBB1_4
; %bb.1:
	s_add_i32 s11, s33, s30
	s_add_i32 s17, s11, s27
	s_add_i32 s11, s31, s29
	s_add_i32 s19, s11, s28
	s_lshl_b64 s[22:23], s[16:17], 2
	s_lshl_b64 s[34:35], s[18:19], 2
	s_add_u32 s17, s22, s34
	s_addc_u32 s19, s23, s35
	s_add_i32 s11, s25, s24
	s_add_i32 s11, s11, s26
	s_lshl_b64 s[22:23], s[10:11], 2
	s_add_u32 s11, s17, s22
	s_addc_u32 s17, s19, s23
	s_add_u32 s11, s12, s11
	s_addc_u32 s17, s13, s17
	v_mov_b32_e32 v2, s17
	v_add_co_u32_e32 v1, vcc, s11, v3
	v_mov_b32_e32 v4, 0
	v_addc_co_u32_e32 v2, vcc, 0, v2, vcc
	s_mov_b64 s[22:23], 0
	v_mov_b32_e32 v5, 0
	v_mov_b32_e32 v6, v0
.LBB1_2:                                ; =>This Inner Loop Header: Depth=1
	global_load_dword v7, v[1:2], off
	v_add_co_u32_e32 v1, vcc, 0x1000, v1
	v_add_u32_e32 v6, 0x400, v6
	v_addc_co_u32_e32 v2, vcc, 0, v2, vcc
	v_cmp_le_i32_e32 vcc, s9, v6
	s_or_b64 s[22:23], vcc, s[22:23]
	s_waitcnt vmcnt(0)
	v_add_f32_e32 v4, v4, v7
	v_fmac_f32_e32 v5, v7, v7
	s_andn2_b64 exec, exec, s[22:23]
	s_cbranch_execnz .LBB1_2
; %bb.3:
	s_or_b64 exec, exec, s[22:23]
.LBB1_4:
	s_or_b64 exec, exec, s[20:21]
	v_mbcnt_lo_u32_b32 v1, -1, 0
	v_mbcnt_hi_u32_b32 v6, -1, v1
	v_and_b32_e32 v1, 0x60, v6
	v_add_u32_e32 v7, 32, v1
	v_xor_b32_e32 v1, 16, v6
	v_cmp_lt_i32_e32 vcc, v1, v7
	v_cndmask_b32_e32 v1, v6, v1, vcc
	v_lshlrev_b32_e32 v1, 2, v1
	ds_bpermute_b32 v2, v1, v4
	ds_bpermute_b32 v8, v1, v5
	s_waitcnt lgkmcnt(1)
	v_add_f32_e32 v4, v4, v2
	v_xor_b32_e32 v2, 8, v6
	v_cmp_lt_i32_e32 vcc, v2, v7
	v_cndmask_b32_e32 v2, v6, v2, vcc
	v_lshlrev_b32_e32 v2, 2, v2
	s_waitcnt lgkmcnt(0)
	v_add_f32_e32 v5, v5, v8
	ds_bpermute_b32 v8, v2, v4
	ds_bpermute_b32 v9, v2, v5
	s_waitcnt lgkmcnt(1)
	v_add_f32_e32 v8, v4, v8
	v_xor_b32_e32 v4, 4, v6
	v_cmp_lt_i32_e32 vcc, v4, v7
	v_cndmask_b32_e32 v4, v6, v4, vcc
	s_waitcnt lgkmcnt(0)
	v_add_f32_e32 v5, v5, v9
	v_lshlrev_b32_e32 v4, 2, v4
	ds_bpermute_b32 v9, v4, v8
	ds_bpermute_b32 v10, v4, v5
	s_waitcnt lgkmcnt(1)
	v_add_f32_e32 v8, v8, v9
	s_waitcnt lgkmcnt(0)
	v_add_f32_e32 v9, v5, v10
	v_xor_b32_e32 v5, 2, v6
	v_cmp_lt_i32_e32 vcc, v5, v7
	v_cndmask_b32_e32 v5, v6, v5, vcc
	v_lshlrev_b32_e32 v5, 2, v5
	ds_bpermute_b32 v10, v5, v8
	ds_bpermute_b32 v11, v5, v9
	s_waitcnt lgkmcnt(1)
	v_add_f32_e32 v8, v8, v10
	v_xor_b32_e32 v10, 1, v6
	v_cmp_lt_i32_e32 vcc, v10, v7
	v_cndmask_b32_e32 v6, v6, v10, vcc
	s_waitcnt lgkmcnt(0)
	v_add_f32_e32 v9, v9, v11
	v_lshlrev_b32_e32 v6, 2, v6
	ds_bpermute_b32 v10, v6, v8
	ds_bpermute_b32 v11, v6, v9
	v_and_b32_e32 v7, 31, v0
	v_cmp_eq_u32_e32 vcc, 0, v7
	s_and_saveexec_b64 s[20:21], vcc
	s_cbranch_execz .LBB1_6
; %bb.5:
	s_waitcnt lgkmcnt(1)
	v_add_f32_e32 v8, v8, v10
	v_lshrrev_b32_e32 v10, 2, v0
	s_waitcnt lgkmcnt(0)
	v_add_f32_e32 v9, v9, v11
	v_add_u32_e32 v10, 0, v10
	ds_write_b64 v10, v[8:9]
.LBB1_6:
	s_or_b64 exec, exec, s[20:21]
	v_lshl_add_u32 v7, v7, 3, 0
	s_waitcnt lgkmcnt(0)
	s_barrier
	ds_read_b64 v[7:8], v7
	s_waitcnt lgkmcnt(0)
	ds_bpermute_b32 v9, v1, v7
	ds_bpermute_b32 v1, v1, v8
	s_waitcnt lgkmcnt(1)
	v_add_f32_e32 v7, v7, v9
	s_waitcnt lgkmcnt(0)
	v_add_f32_e32 v1, v8, v1
	ds_bpermute_b32 v8, v2, v7
	ds_bpermute_b32 v2, v2, v1
	s_waitcnt lgkmcnt(1)
	v_add_f32_e32 v7, v7, v8
	s_waitcnt lgkmcnt(0)
	v_add_f32_e32 v1, v1, v2
	;; [unrolled: 6-line block ×4, first 2 shown]
	ds_bpermute_b32 v4, v6, v1
	ds_bpermute_b32 v5, v6, v2
	s_and_saveexec_b64 s[20:21], s[0:1]
	s_cbranch_execz .LBB1_9
; %bb.7:
	v_cvt_f32_i32_e32 v6, s9
	s_waitcnt lgkmcnt(1)
	v_add_f32_e32 v1, v1, v4
	s_waitcnt lgkmcnt(0)
	v_add_f32_e32 v2, v2, v5
	s_load_dword s11, s[4:5], 0x30
	v_div_scale_f32 v4, s[0:1], v6, v6, v1
	v_div_scale_f32 v5, s[0:1], v6, v6, v2
	v_div_scale_f32 v7, vcc, v1, v6, v1
	v_div_scale_f32 v8, s[0:1], v2, v6, v2
	s_mov_b32 s20, 0x800000
	v_rcp_f32_e32 v9, v4
	v_rcp_f32_e32 v10, v5
	v_fma_f32 v11, -v4, v9, 1.0
	v_fmac_f32_e32 v9, v11, v9
	v_fma_f32 v12, -v5, v10, 1.0
	v_fmac_f32_e32 v10, v12, v10
	v_mul_f32_e32 v11, v7, v9
	v_mul_f32_e32 v12, v8, v10
	v_fma_f32 v13, -v4, v11, v7
	v_fma_f32 v14, -v5, v12, v8
	v_fmac_f32_e32 v11, v13, v9
	v_fmac_f32_e32 v12, v14, v10
	v_fma_f32 v4, -v4, v11, v7
	v_fma_f32 v5, -v5, v12, v8
	v_div_fmas_f32 v4, v4, v9, v11
	s_mov_b64 vcc, s[0:1]
	v_div_fmas_f32 v7, v5, v10, v12
	s_mul_i32 s0, s3, s8
	s_add_i32 s0, s0, s7
	s_mul_i32 s4, s0, s2
	s_add_i32 s1, s33, s30
	s_add_i32 s3, s31, s29
	;; [unrolled: 1-line block ×5, first 2 shown]
	s_mul_i32 s4, s4, s9
	s_lshl_b64 s[0:1], s[16:17], 2
	s_lshl_b64 s[2:3], s[18:19], 2
	s_ashr_i32 s5, s4, 31
	s_add_u32 s2, s0, s2
	v_div_fixup_f32 v5, v4, v6, v1
	s_addc_u32 s3, s1, s3
	v_div_fixup_f32 v1, v7, v6, v2
	v_fma_f32 v1, -v5, v5, v1
	s_waitcnt lgkmcnt(0)
	v_add_f32_e32 v1, s11, v1
	v_mul_f32_e32 v2, 0x4b800000, v1
	v_cmp_gt_f32_e32 vcc, s20, v1
	s_add_i32 s0, s25, s24
	v_cndmask_b32_e32 v1, v1, v2, vcc
	s_add_i32 s11, s0, s26
	v_rsq_f32_e32 v1, v1
	s_lshl_b64 s[0:1], s[10:11], 2
	s_add_u32 s0, s2, s0
	s_addc_u32 s1, s3, s1
	s_add_u32 s0, s12, s0
	v_mul_f32_e32 v2, 0x45800000, v1
	s_addc_u32 s1, s13, s1
	v_cndmask_b32_e32 v6, v1, v2, vcc
	v_mov_b32_e32 v2, s1
	v_add_co_u32_e32 v1, vcc, s0, v3
	s_lshl_b64 s[0:1], s[4:5], 2
	s_add_u32 s0, s14, s0
	v_addc_co_u32_e32 v2, vcc, 0, v2, vcc
	s_addc_u32 s1, s15, s1
	v_mov_b32_e32 v4, s1
	v_add_co_u32_e32 v3, vcc, s0, v3
	v_addc_co_u32_e32 v4, vcc, 0, v4, vcc
	s_mov_b64 s[0:1], 0
.LBB1_8:                                ; =>This Inner Loop Header: Depth=1
	global_load_dword v7, v[1:2], off
	v_add_co_u32_e32 v1, vcc, 0x1000, v1
	v_add_u32_e32 v0, 0x400, v0
	v_addc_co_u32_e32 v2, vcc, 0, v2, vcc
	v_cmp_le_i32_e32 vcc, s9, v0
	s_or_b64 s[0:1], vcc, s[0:1]
	s_waitcnt vmcnt(0)
	v_sub_f32_e32 v7, v7, v5
	v_mul_f32_e32 v7, v6, v7
	global_store_dword v[3:4], v7, off
	v_add_co_u32_e32 v3, vcc, 0x1000, v3
	v_addc_co_u32_e32 v4, vcc, 0, v4, vcc
	s_andn2_b64 exec, exec, s[0:1]
	s_cbranch_execnz .LBB1_8
.LBB1_9:
	s_endpgm
	.section	.rodata,"a",@progbits
	.p2align	6, 0x0
	.amdhsa_kernel _ZL8norm_f32ILi1024EEvPKfPfilllf
		.amdhsa_group_segment_fixed_size 0
		.amdhsa_private_segment_fixed_size 0
		.amdhsa_kernarg_size 312
		.amdhsa_user_sgpr_count 6
		.amdhsa_user_sgpr_private_segment_buffer 1
		.amdhsa_user_sgpr_dispatch_ptr 0
		.amdhsa_user_sgpr_queue_ptr 0
		.amdhsa_user_sgpr_kernarg_segment_ptr 1
		.amdhsa_user_sgpr_dispatch_id 0
		.amdhsa_user_sgpr_flat_scratch_init 0
		.amdhsa_user_sgpr_private_segment_size 0
		.amdhsa_uses_dynamic_stack 0
		.amdhsa_system_sgpr_private_segment_wavefront_offset 0
		.amdhsa_system_sgpr_workgroup_id_x 1
		.amdhsa_system_sgpr_workgroup_id_y 1
		.amdhsa_system_sgpr_workgroup_id_z 1
		.amdhsa_system_sgpr_workgroup_info 0
		.amdhsa_system_vgpr_workitem_id 0
		.amdhsa_next_free_vgpr 15
		.amdhsa_next_free_sgpr 36
		.amdhsa_reserve_vcc 1
		.amdhsa_reserve_flat_scratch 0
		.amdhsa_float_round_mode_32 0
		.amdhsa_float_round_mode_16_64 0
		.amdhsa_float_denorm_mode_32 3
		.amdhsa_float_denorm_mode_16_64 3
		.amdhsa_dx10_clamp 1
		.amdhsa_ieee_mode 1
		.amdhsa_fp16_overflow 0
		.amdhsa_exception_fp_ieee_invalid_op 0
		.amdhsa_exception_fp_denorm_src 0
		.amdhsa_exception_fp_ieee_div_zero 0
		.amdhsa_exception_fp_ieee_overflow 0
		.amdhsa_exception_fp_ieee_underflow 0
		.amdhsa_exception_fp_ieee_inexact 0
		.amdhsa_exception_int_div_zero 0
	.end_amdhsa_kernel
	.section	.text._ZL8norm_f32ILi1024EEvPKfPfilllf,"axG",@progbits,_ZL8norm_f32ILi1024EEvPKfPfilllf,comdat
.Lfunc_end1:
	.size	_ZL8norm_f32ILi1024EEvPKfPfilllf, .Lfunc_end1-_ZL8norm_f32ILi1024EEvPKfPfilllf
                                        ; -- End function
	.set _ZL8norm_f32ILi1024EEvPKfPfilllf.num_vgpr, 15
	.set _ZL8norm_f32ILi1024EEvPKfPfilllf.num_agpr, 0
	.set _ZL8norm_f32ILi1024EEvPKfPfilllf.numbered_sgpr, 36
	.set _ZL8norm_f32ILi1024EEvPKfPfilllf.num_named_barrier, 0
	.set _ZL8norm_f32ILi1024EEvPKfPfilllf.private_seg_size, 0
	.set _ZL8norm_f32ILi1024EEvPKfPfilllf.uses_vcc, 1
	.set _ZL8norm_f32ILi1024EEvPKfPfilllf.uses_flat_scratch, 0
	.set _ZL8norm_f32ILi1024EEvPKfPfilllf.has_dyn_sized_stack, 0
	.set _ZL8norm_f32ILi1024EEvPKfPfilllf.has_recursion, 0
	.set _ZL8norm_f32ILi1024EEvPKfPfilllf.has_indirect_call, 0
	.section	.AMDGPU.csdata,"",@progbits
; Kernel info:
; codeLenInByte = 1204
; TotalNumSgprs: 40
; NumVgprs: 15
; ScratchSize: 0
; MemoryBound: 0
; FloatMode: 240
; IeeeMode: 1
; LDSByteSize: 0 bytes/workgroup (compile time only)
; SGPRBlocks: 4
; VGPRBlocks: 3
; NumSGPRsForWavesPerEU: 40
; NumVGPRsForWavesPerEU: 15
; Occupancy: 10
; WaveLimiterHint : 0
; COMPUTE_PGM_RSRC2:SCRATCH_EN: 0
; COMPUTE_PGM_RSRC2:USER_SGPR: 6
; COMPUTE_PGM_RSRC2:TRAP_HANDLER: 0
; COMPUTE_PGM_RSRC2:TGID_X_EN: 1
; COMPUTE_PGM_RSRC2:TGID_Y_EN: 1
; COMPUTE_PGM_RSRC2:TGID_Z_EN: 1
; COMPUTE_PGM_RSRC2:TIDIG_COMP_CNT: 0
	.section	.text._ZL14group_norm_f32ILi32EEvPKfPfiif,"axG",@progbits,_ZL14group_norm_f32ILi32EEvPKfPfiif,comdat
	.globl	_ZL14group_norm_f32ILi32EEvPKfPfiif ; -- Begin function _ZL14group_norm_f32ILi32EEvPKfPfiif
	.p2align	8
	.type	_ZL14group_norm_f32ILi32EEvPKfPfiif,@function
_ZL14group_norm_f32ILi32EEvPKfPfiif:    ; @_ZL14group_norm_f32ILi32EEvPKfPfiif
; %bb.0:
	s_load_dwordx8 s[8:15], s[4:5], 0x0
	s_waitcnt lgkmcnt(0)
	s_mul_i32 s0, s12, s6
	s_add_i32 s1, s0, s12
	v_cvt_f64_i32_e32 v[1:2], s13
	v_cvt_f64_u32_e32 v[3:4], s1
	v_add_u32_e32 v0, s0, v0
	v_min_f64 v[1:2], v[3:4], v[1:2]
	v_mov_b32_e32 v4, 0
	v_cvt_i32_f64_e32 v6, v[1:2]
	v_ashrrev_i32_e32 v1, 31, v0
	v_cmp_lt_i32_e64 s[0:1], v0, v6
	s_and_saveexec_b64 s[2:3], s[0:1]
	s_cbranch_execz .LBB2_4
; %bb.1:
	v_lshlrev_b64 v[2:3], 2, v[0:1]
	v_mov_b32_e32 v4, s9
	v_add_co_u32_e32 v2, vcc, s8, v2
	v_addc_co_u32_e32 v3, vcc, v4, v3, vcc
	v_mov_b32_e32 v4, 0
	s_mov_b64 s[4:5], 0
	v_mov_b32_e32 v5, v0
.LBB2_2:                                ; =>This Inner Loop Header: Depth=1
	global_load_dword v7, v[2:3], off
	v_add_co_u32_e32 v2, vcc, 0x80, v2
	v_add_u32_e32 v5, 32, v5
	v_addc_co_u32_e32 v3, vcc, 0, v3, vcc
	v_cmp_ge_i32_e32 vcc, v5, v6
	s_or_b64 s[4:5], vcc, s[4:5]
	s_waitcnt vmcnt(0)
	v_add_f32_e32 v4, v4, v7
	s_andn2_b64 exec, exec, s[4:5]
	s_cbranch_execnz .LBB2_2
; %bb.3:
	s_or_b64 exec, exec, s[4:5]
.LBB2_4:
	s_or_b64 exec, exec, s[2:3]
	v_mbcnt_lo_u32_b32 v2, -1, 0
	v_mbcnt_hi_u32_b32 v3, -1, v2
	v_and_b32_e32 v2, 0x60, v3
	v_add_u32_e32 v5, 32, v2
	v_xor_b32_e32 v2, 16, v3
	v_cmp_lt_i32_e32 vcc, v2, v5
	v_cndmask_b32_e32 v2, v3, v2, vcc
	v_lshlrev_b32_e32 v8, 2, v2
	ds_bpermute_b32 v2, v8, v4
	v_xor_b32_e32 v7, 8, v3
	v_cmp_lt_i32_e32 vcc, v7, v5
	v_mov_b32_e32 v13, 0
	s_waitcnt lgkmcnt(0)
	v_add_f32_e32 v2, v4, v2
	v_cndmask_b32_e32 v4, v3, v7, vcc
	v_lshlrev_b32_e32 v9, 2, v4
	ds_bpermute_b32 v4, v9, v2
	v_xor_b32_e32 v7, 4, v3
	v_cmp_lt_i32_e32 vcc, v7, v5
	s_waitcnt lgkmcnt(0)
	v_add_f32_e32 v2, v2, v4
	v_cndmask_b32_e32 v4, v3, v7, vcc
	v_lshlrev_b32_e32 v10, 2, v4
	ds_bpermute_b32 v4, v10, v2
	v_xor_b32_e32 v7, 2, v3
	v_cmp_lt_i32_e32 vcc, v7, v5
	;; [unrolled: 7-line block ×3, first 2 shown]
	v_cndmask_b32_e32 v3, v3, v7, vcc
	v_lshlrev_b32_e32 v12, 2, v3
	s_waitcnt lgkmcnt(0)
	v_add_f32_e32 v2, v2, v4
	ds_bpermute_b32 v3, v12, v2
	v_cvt_f32_i32_e32 v7, s12
	s_and_saveexec_b64 s[2:3], s[0:1]
	s_cbranch_execz .LBB2_8
; %bb.5:
	s_waitcnt lgkmcnt(0)
	v_add_f32_e32 v14, v2, v3
	v_div_scale_f32 v2, s[4:5], v7, v7, v14
	v_div_scale_f32 v3, vcc, v14, v7, v14
	v_mov_b32_e32 v16, s11
	s_mov_b64 s[4:5], 0
	v_rcp_f32_e32 v4, v2
	v_fma_f32 v5, -v2, v4, 1.0
	v_fmac_f32_e32 v4, v5, v4
	v_mul_f32_e32 v5, v3, v4
	v_fma_f32 v13, -v2, v5, v3
	v_fmac_f32_e32 v5, v13, v4
	v_fma_f32 v2, -v2, v5, v3
	v_div_fmas_f32 v15, v2, v4, v5
	v_lshlrev_b64 v[4:5], 2, v[0:1]
	v_mov_b32_e32 v3, s9
	v_add_co_u32_e32 v2, vcc, s8, v4
	v_addc_co_u32_e32 v3, vcc, v3, v5, vcc
	v_add_co_u32_e32 v4, vcc, s10, v4
	v_mov_b32_e32 v13, 0
	v_addc_co_u32_e32 v5, vcc, v16, v5, vcc
	v_div_fixup_f32 v14, v15, v7, v14
	v_mov_b32_e32 v15, v0
.LBB2_6:                                ; =>This Inner Loop Header: Depth=1
	global_load_dword v16, v[2:3], off
	v_add_co_u32_e32 v2, vcc, 0x80, v2
	v_add_u32_e32 v15, 32, v15
	v_addc_co_u32_e32 v3, vcc, 0, v3, vcc
	v_cmp_ge_i32_e32 vcc, v15, v6
	s_or_b64 s[4:5], vcc, s[4:5]
	s_waitcnt vmcnt(0)
	v_sub_f32_e32 v16, v16, v14
	global_store_dword v[4:5], v16, off
	v_add_co_u32_e32 v4, vcc, 0x80, v4
	v_fmac_f32_e32 v13, v16, v16
	v_addc_co_u32_e32 v5, vcc, 0, v5, vcc
	s_andn2_b64 exec, exec, s[4:5]
	s_cbranch_execnz .LBB2_6
; %bb.7:
	s_or_b64 exec, exec, s[4:5]
.LBB2_8:
	s_or_b64 exec, exec, s[2:3]
	ds_bpermute_b32 v2, v8, v13
	s_waitcnt lgkmcnt(0)
	v_add_f32_e32 v2, v13, v2
	ds_bpermute_b32 v3, v9, v2
	s_waitcnt lgkmcnt(0)
	v_add_f32_e32 v2, v2, v3
	;; [unrolled: 3-line block ×4, first 2 shown]
	ds_bpermute_b32 v3, v12, v2
	s_and_saveexec_b64 s[2:3], s[0:1]
	s_cbranch_execz .LBB2_11
; %bb.9:
	s_waitcnt lgkmcnt(0)
	v_add_f32_e32 v3, v2, v3
	v_div_scale_f32 v2, s[0:1], v7, v7, v3
	v_div_scale_f32 v4, vcc, v3, v7, v3
	s_mov_b32 s0, 0x800000
	v_rcp_f32_e32 v5, v2
	v_fma_f32 v8, -v2, v5, 1.0
	v_fmac_f32_e32 v5, v8, v5
	v_mul_f32_e32 v8, v4, v5
	v_fma_f32 v9, -v2, v8, v4
	v_fmac_f32_e32 v8, v9, v5
	v_fma_f32 v2, -v2, v8, v4
	v_div_fmas_f32 v4, v2, v5, v8
	v_lshlrev_b64 v[1:2], 2, v[0:1]
	v_mov_b32_e32 v5, s11
	v_div_fixup_f32 v3, v4, v7, v3
	v_add_f32_e32 v3, s14, v3
	v_mul_f32_e32 v4, 0x4b800000, v3
	v_cmp_gt_f32_e32 vcc, s0, v3
	v_cndmask_b32_e32 v3, v3, v4, vcc
	v_rsq_f32_e32 v3, v3
	v_add_co_u32_e64 v1, s[0:1], s10, v1
	v_addc_co_u32_e64 v2, s[0:1], v5, v2, s[0:1]
	v_mul_f32_e32 v4, 0x45800000, v3
	v_cndmask_b32_e32 v3, v3, v4, vcc
	s_mov_b64 s[0:1], 0
.LBB2_10:                               ; =>This Inner Loop Header: Depth=1
	global_load_dword v4, v[1:2], off
	v_add_u32_e32 v0, 32, v0
	v_cmp_ge_i32_e32 vcc, v0, v6
	s_or_b64 s[0:1], vcc, s[0:1]
	s_waitcnt vmcnt(0)
	v_mul_f32_e32 v4, v3, v4
	global_store_dword v[1:2], v4, off
	v_add_co_u32_e32 v1, vcc, 0x80, v1
	v_addc_co_u32_e32 v2, vcc, 0, v2, vcc
	s_andn2_b64 exec, exec, s[0:1]
	s_cbranch_execnz .LBB2_10
.LBB2_11:
	s_endpgm
	.section	.rodata,"a",@progbits
	.p2align	6, 0x0
	.amdhsa_kernel _ZL14group_norm_f32ILi32EEvPKfPfiif
		.amdhsa_group_segment_fixed_size 0
		.amdhsa_private_segment_fixed_size 0
		.amdhsa_kernarg_size 28
		.amdhsa_user_sgpr_count 6
		.amdhsa_user_sgpr_private_segment_buffer 1
		.amdhsa_user_sgpr_dispatch_ptr 0
		.amdhsa_user_sgpr_queue_ptr 0
		.amdhsa_user_sgpr_kernarg_segment_ptr 1
		.amdhsa_user_sgpr_dispatch_id 0
		.amdhsa_user_sgpr_flat_scratch_init 0
		.amdhsa_user_sgpr_private_segment_size 0
		.amdhsa_uses_dynamic_stack 0
		.amdhsa_system_sgpr_private_segment_wavefront_offset 0
		.amdhsa_system_sgpr_workgroup_id_x 1
		.amdhsa_system_sgpr_workgroup_id_y 0
		.amdhsa_system_sgpr_workgroup_id_z 0
		.amdhsa_system_sgpr_workgroup_info 0
		.amdhsa_system_vgpr_workitem_id 0
		.amdhsa_next_free_vgpr 17
		.amdhsa_next_free_sgpr 16
		.amdhsa_reserve_vcc 1
		.amdhsa_reserve_flat_scratch 0
		.amdhsa_float_round_mode_32 0
		.amdhsa_float_round_mode_16_64 0
		.amdhsa_float_denorm_mode_32 3
		.amdhsa_float_denorm_mode_16_64 3
		.amdhsa_dx10_clamp 1
		.amdhsa_ieee_mode 1
		.amdhsa_fp16_overflow 0
		.amdhsa_exception_fp_ieee_invalid_op 0
		.amdhsa_exception_fp_denorm_src 0
		.amdhsa_exception_fp_ieee_div_zero 0
		.amdhsa_exception_fp_ieee_overflow 0
		.amdhsa_exception_fp_ieee_underflow 0
		.amdhsa_exception_fp_ieee_inexact 0
		.amdhsa_exception_int_div_zero 0
	.end_amdhsa_kernel
	.section	.text._ZL14group_norm_f32ILi32EEvPKfPfiif,"axG",@progbits,_ZL14group_norm_f32ILi32EEvPKfPfiif,comdat
.Lfunc_end2:
	.size	_ZL14group_norm_f32ILi32EEvPKfPfiif, .Lfunc_end2-_ZL14group_norm_f32ILi32EEvPKfPfiif
                                        ; -- End function
	.set _ZL14group_norm_f32ILi32EEvPKfPfiif.num_vgpr, 17
	.set _ZL14group_norm_f32ILi32EEvPKfPfiif.num_agpr, 0
	.set _ZL14group_norm_f32ILi32EEvPKfPfiif.numbered_sgpr, 16
	.set _ZL14group_norm_f32ILi32EEvPKfPfiif.num_named_barrier, 0
	.set _ZL14group_norm_f32ILi32EEvPKfPfiif.private_seg_size, 0
	.set _ZL14group_norm_f32ILi32EEvPKfPfiif.uses_vcc, 1
	.set _ZL14group_norm_f32ILi32EEvPKfPfiif.uses_flat_scratch, 0
	.set _ZL14group_norm_f32ILi32EEvPKfPfiif.has_dyn_sized_stack, 0
	.set _ZL14group_norm_f32ILi32EEvPKfPfiif.has_recursion, 0
	.set _ZL14group_norm_f32ILi32EEvPKfPfiif.has_indirect_call, 0
	.section	.AMDGPU.csdata,"",@progbits
; Kernel info:
; codeLenInByte = 852
; TotalNumSgprs: 20
; NumVgprs: 17
; ScratchSize: 0
; MemoryBound: 0
; FloatMode: 240
; IeeeMode: 1
; LDSByteSize: 0 bytes/workgroup (compile time only)
; SGPRBlocks: 2
; VGPRBlocks: 4
; NumSGPRsForWavesPerEU: 20
; NumVGPRsForWavesPerEU: 17
; Occupancy: 10
; WaveLimiterHint : 0
; COMPUTE_PGM_RSRC2:SCRATCH_EN: 0
; COMPUTE_PGM_RSRC2:USER_SGPR: 6
; COMPUTE_PGM_RSRC2:TRAP_HANDLER: 0
; COMPUTE_PGM_RSRC2:TGID_X_EN: 1
; COMPUTE_PGM_RSRC2:TGID_Y_EN: 0
; COMPUTE_PGM_RSRC2:TGID_Z_EN: 0
; COMPUTE_PGM_RSRC2:TIDIG_COMP_CNT: 0
	.section	.text._ZL14group_norm_f32ILi1024EEvPKfPfiif,"axG",@progbits,_ZL14group_norm_f32ILi1024EEvPKfPfiif,comdat
	.globl	_ZL14group_norm_f32ILi1024EEvPKfPfiif ; -- Begin function _ZL14group_norm_f32ILi1024EEvPKfPfiif
	.p2align	8
	.type	_ZL14group_norm_f32ILi1024EEvPKfPfiif,@function
_ZL14group_norm_f32ILi1024EEvPKfPfiif:  ; @_ZL14group_norm_f32ILi1024EEvPKfPfiif
; %bb.0:
	s_load_dwordx8 s[8:15], s[4:5], 0x0
	v_mov_b32_e32 v5, 0
	s_waitcnt lgkmcnt(0)
	s_mul_i32 s0, s12, s6
	s_add_i32 s1, s0, s12
	v_cvt_f64_i32_e32 v[1:2], s13
	v_cvt_f64_u32_e32 v[3:4], s1
	v_min_f64 v[1:2], v[3:4], v[1:2]
	v_cvt_i32_f64_e32 v7, v[1:2]
	v_add_u32_e32 v1, s0, v0
	v_ashrrev_i32_e32 v2, 31, v1
	v_cmp_lt_i32_e64 s[0:1], v1, v7
	s_and_saveexec_b64 s[2:3], s[0:1]
	s_cbranch_execz .LBB3_4
; %bb.1:
	v_lshlrev_b64 v[3:4], 2, v[1:2]
	v_mov_b32_e32 v5, s9
	v_add_co_u32_e32 v3, vcc, s8, v3
	v_addc_co_u32_e32 v4, vcc, v5, v4, vcc
	v_mov_b32_e32 v5, 0
	s_mov_b64 s[4:5], 0
	v_mov_b32_e32 v6, v1
.LBB3_2:                                ; =>This Inner Loop Header: Depth=1
	global_load_dword v8, v[3:4], off
	v_add_co_u32_e32 v3, vcc, 0x1000, v3
	v_add_u32_e32 v6, 0x400, v6
	v_addc_co_u32_e32 v4, vcc, 0, v4, vcc
	v_cmp_ge_i32_e32 vcc, v6, v7
	s_or_b64 s[4:5], vcc, s[4:5]
	s_waitcnt vmcnt(0)
	v_add_f32_e32 v5, v5, v8
	s_andn2_b64 exec, exec, s[4:5]
	s_cbranch_execnz .LBB3_2
; %bb.3:
	s_or_b64 exec, exec, s[4:5]
.LBB3_4:
	s_or_b64 exec, exec, s[2:3]
	v_mbcnt_lo_u32_b32 v3, -1, 0
	v_mbcnt_hi_u32_b32 v3, -1, v3
	v_and_b32_e32 v4, 0x60, v3
	v_add_u32_e32 v6, 32, v4
	v_xor_b32_e32 v4, 16, v3
	v_cmp_lt_i32_e32 vcc, v4, v6
	v_cndmask_b32_e32 v4, v3, v4, vcc
	v_lshlrev_b32_e32 v8, 2, v4
	ds_bpermute_b32 v4, v8, v5
	v_xor_b32_e32 v9, 8, v3
	v_cmp_lt_i32_e32 vcc, v9, v6
	v_xor_b32_e32 v10, 4, v3
	v_xor_b32_e32 v11, 2, v3
	s_waitcnt lgkmcnt(0)
	v_add_f32_e32 v4, v5, v4
	v_cndmask_b32_e32 v5, v3, v9, vcc
	v_lshlrev_b32_e32 v9, 2, v5
	ds_bpermute_b32 v5, v9, v4
	v_cmp_lt_i32_e32 vcc, v10, v6
	v_xor_b32_e32 v12, 1, v3
	v_lshrrev_b32_e32 v13, 3, v0
	s_waitcnt lgkmcnt(0)
	v_add_f32_e32 v4, v4, v5
	v_cndmask_b32_e32 v5, v3, v10, vcc
	v_lshlrev_b32_e32 v10, 2, v5
	ds_bpermute_b32 v5, v10, v4
	v_cmp_lt_i32_e32 vcc, v11, v6
	s_waitcnt lgkmcnt(0)
	v_add_f32_e32 v4, v4, v5
	v_cndmask_b32_e32 v5, v3, v11, vcc
	v_lshlrev_b32_e32 v11, 2, v5
	ds_bpermute_b32 v5, v11, v4
	v_cmp_lt_i32_e32 vcc, v12, v6
	v_cndmask_b32_e32 v3, v3, v12, vcc
	v_lshlrev_b32_e32 v12, 2, v3
	v_and_b32_e32 v3, 31, v0
	s_waitcnt lgkmcnt(0)
	v_add_f32_e32 v4, v4, v5
	ds_bpermute_b32 v5, v12, v4
	v_cmp_eq_u32_e64 s[2:3], 0, v3
	s_and_saveexec_b64 s[4:5], s[2:3]
	s_cbranch_execz .LBB3_6
; %bb.5:
	s_waitcnt lgkmcnt(0)
	v_add_f32_e32 v0, v4, v5
	v_add_u32_e32 v4, 0, v13
	ds_write_b32 v4, v0
.LBB3_6:
	s_or_b64 exec, exec, s[4:5]
	v_lshl_add_u32 v14, v3, 2, 0
	s_waitcnt lgkmcnt(0)
	s_barrier
	ds_read_b32 v0, v14
	v_mov_b32_e32 v15, 0
	s_waitcnt lgkmcnt(0)
	ds_bpermute_b32 v3, v8, v0
	s_waitcnt lgkmcnt(0)
	v_add_f32_e32 v0, v0, v3
	ds_bpermute_b32 v3, v9, v0
	s_waitcnt lgkmcnt(0)
	v_add_f32_e32 v0, v0, v3
	;; [unrolled: 3-line block ×4, first 2 shown]
	ds_bpermute_b32 v4, v12, v3
	v_cvt_f32_i32_e32 v0, s12
	s_and_saveexec_b64 s[4:5], s[0:1]
	s_cbranch_execz .LBB3_10
; %bb.7:
	s_waitcnt lgkmcnt(0)
	v_add_f32_e32 v16, v3, v4
	v_div_scale_f32 v3, s[6:7], v0, v0, v16
	v_div_scale_f32 v4, vcc, v16, v0, v16
	v_mov_b32_e32 v18, s11
	s_mov_b64 s[6:7], 0
	v_rcp_f32_e32 v5, v3
	v_fma_f32 v6, -v3, v5, 1.0
	v_fmac_f32_e32 v5, v6, v5
	v_mul_f32_e32 v6, v4, v5
	v_fma_f32 v15, -v3, v6, v4
	v_fmac_f32_e32 v6, v15, v5
	v_fma_f32 v3, -v3, v6, v4
	v_div_fmas_f32 v17, v3, v5, v6
	v_lshlrev_b64 v[5:6], 2, v[1:2]
	v_mov_b32_e32 v4, s9
	v_add_co_u32_e32 v3, vcc, s8, v5
	v_addc_co_u32_e32 v4, vcc, v4, v6, vcc
	v_add_co_u32_e32 v5, vcc, s10, v5
	v_mov_b32_e32 v15, 0
	v_addc_co_u32_e32 v6, vcc, v18, v6, vcc
	v_div_fixup_f32 v16, v17, v0, v16
	v_mov_b32_e32 v17, v1
.LBB3_8:                                ; =>This Inner Loop Header: Depth=1
	global_load_dword v18, v[3:4], off
	v_add_co_u32_e32 v3, vcc, 0x1000, v3
	v_add_u32_e32 v17, 0x400, v17
	v_addc_co_u32_e32 v4, vcc, 0, v4, vcc
	v_cmp_ge_i32_e32 vcc, v17, v7
	s_or_b64 s[6:7], vcc, s[6:7]
	s_waitcnt vmcnt(0)
	v_sub_f32_e32 v18, v18, v16
	global_store_dword v[5:6], v18, off
	v_add_co_u32_e32 v5, vcc, 0x1000, v5
	v_fmac_f32_e32 v15, v18, v18
	v_addc_co_u32_e32 v6, vcc, 0, v6, vcc
	s_andn2_b64 exec, exec, s[6:7]
	s_cbranch_execnz .LBB3_8
; %bb.9:
	s_or_b64 exec, exec, s[6:7]
.LBB3_10:
	s_or_b64 exec, exec, s[4:5]
	ds_bpermute_b32 v3, v8, v15
	s_waitcnt lgkmcnt(0)
	v_add_f32_e32 v3, v15, v3
	ds_bpermute_b32 v4, v9, v3
	s_waitcnt lgkmcnt(0)
	v_add_f32_e32 v3, v3, v4
	;; [unrolled: 3-line block ×4, first 2 shown]
	ds_bpermute_b32 v4, v12, v3
	s_and_saveexec_b64 s[4:5], s[2:3]
	s_cbranch_execz .LBB3_12
; %bb.11:
	s_waitcnt lgkmcnt(0)
	v_add_f32_e32 v3, v3, v4
	v_add_u32_e32 v4, 0, v13
	ds_write_b32 v4, v3
.LBB3_12:
	s_or_b64 exec, exec, s[4:5]
	s_waitcnt vmcnt(0) lgkmcnt(0)
	s_barrier
	ds_read_b32 v3, v14
	s_waitcnt lgkmcnt(0)
	ds_bpermute_b32 v4, v8, v3
	s_waitcnt lgkmcnt(0)
	v_add_f32_e32 v3, v3, v4
	ds_bpermute_b32 v4, v9, v3
	s_waitcnt lgkmcnt(0)
	v_add_f32_e32 v3, v3, v4
	ds_bpermute_b32 v4, v10, v3
	s_waitcnt lgkmcnt(0)
	v_add_f32_e32 v3, v3, v4
	ds_bpermute_b32 v4, v11, v3
	s_waitcnt lgkmcnt(0)
	v_add_f32_e32 v3, v3, v4
	ds_bpermute_b32 v4, v12, v3
	s_and_saveexec_b64 s[2:3], s[0:1]
	s_cbranch_execz .LBB3_15
; %bb.13:
	s_waitcnt lgkmcnt(0)
	v_add_f32_e32 v4, v3, v4
	v_div_scale_f32 v3, s[0:1], v0, v0, v4
	v_div_scale_f32 v5, vcc, v4, v0, v4
	s_mov_b32 s0, 0x800000
	v_rcp_f32_e32 v6, v3
	v_fma_f32 v8, -v3, v6, 1.0
	v_fmac_f32_e32 v6, v8, v6
	v_mul_f32_e32 v8, v5, v6
	v_fma_f32 v9, -v3, v8, v5
	v_fmac_f32_e32 v8, v9, v6
	v_fma_f32 v3, -v3, v8, v5
	v_div_fmas_f32 v5, v3, v6, v8
	v_lshlrev_b64 v[2:3], 2, v[1:2]
	v_mov_b32_e32 v6, s11
	v_div_fixup_f32 v0, v5, v0, v4
	v_add_f32_e32 v0, s14, v0
	v_mul_f32_e32 v4, 0x4b800000, v0
	v_cmp_gt_f32_e32 vcc, s0, v0
	v_cndmask_b32_e32 v0, v0, v4, vcc
	v_rsq_f32_e32 v0, v0
	v_add_co_u32_e64 v2, s[0:1], s10, v2
	v_addc_co_u32_e64 v3, s[0:1], v6, v3, s[0:1]
	v_mul_f32_e32 v4, 0x45800000, v0
	v_cndmask_b32_e32 v0, v0, v4, vcc
	s_mov_b64 s[0:1], 0
.LBB3_14:                               ; =>This Inner Loop Header: Depth=1
	global_load_dword v4, v[2:3], off
	v_add_u32_e32 v1, 0x400, v1
	v_cmp_ge_i32_e32 vcc, v1, v7
	s_or_b64 s[0:1], vcc, s[0:1]
	s_waitcnt vmcnt(0)
	v_mul_f32_e32 v4, v0, v4
	global_store_dword v[2:3], v4, off
	v_add_co_u32_e32 v2, vcc, 0x1000, v2
	v_addc_co_u32_e32 v3, vcc, 0, v3, vcc
	s_andn2_b64 exec, exec, s[0:1]
	s_cbranch_execnz .LBB3_14
.LBB3_15:
	s_endpgm
	.section	.rodata,"a",@progbits
	.p2align	6, 0x0
	.amdhsa_kernel _ZL14group_norm_f32ILi1024EEvPKfPfiif
		.amdhsa_group_segment_fixed_size 0
		.amdhsa_private_segment_fixed_size 0
		.amdhsa_kernarg_size 28
		.amdhsa_user_sgpr_count 6
		.amdhsa_user_sgpr_private_segment_buffer 1
		.amdhsa_user_sgpr_dispatch_ptr 0
		.amdhsa_user_sgpr_queue_ptr 0
		.amdhsa_user_sgpr_kernarg_segment_ptr 1
		.amdhsa_user_sgpr_dispatch_id 0
		.amdhsa_user_sgpr_flat_scratch_init 0
		.amdhsa_user_sgpr_private_segment_size 0
		.amdhsa_uses_dynamic_stack 0
		.amdhsa_system_sgpr_private_segment_wavefront_offset 0
		.amdhsa_system_sgpr_workgroup_id_x 1
		.amdhsa_system_sgpr_workgroup_id_y 0
		.amdhsa_system_sgpr_workgroup_id_z 0
		.amdhsa_system_sgpr_workgroup_info 0
		.amdhsa_system_vgpr_workitem_id 0
		.amdhsa_next_free_vgpr 19
		.amdhsa_next_free_sgpr 16
		.amdhsa_reserve_vcc 1
		.amdhsa_reserve_flat_scratch 0
		.amdhsa_float_round_mode_32 0
		.amdhsa_float_round_mode_16_64 0
		.amdhsa_float_denorm_mode_32 3
		.amdhsa_float_denorm_mode_16_64 3
		.amdhsa_dx10_clamp 1
		.amdhsa_ieee_mode 1
		.amdhsa_fp16_overflow 0
		.amdhsa_exception_fp_ieee_invalid_op 0
		.amdhsa_exception_fp_denorm_src 0
		.amdhsa_exception_fp_ieee_div_zero 0
		.amdhsa_exception_fp_ieee_overflow 0
		.amdhsa_exception_fp_ieee_underflow 0
		.amdhsa_exception_fp_ieee_inexact 0
		.amdhsa_exception_int_div_zero 0
	.end_amdhsa_kernel
	.section	.text._ZL14group_norm_f32ILi1024EEvPKfPfiif,"axG",@progbits,_ZL14group_norm_f32ILi1024EEvPKfPfiif,comdat
.Lfunc_end3:
	.size	_ZL14group_norm_f32ILi1024EEvPKfPfiif, .Lfunc_end3-_ZL14group_norm_f32ILi1024EEvPKfPfiif
                                        ; -- End function
	.set _ZL14group_norm_f32ILi1024EEvPKfPfiif.num_vgpr, 19
	.set _ZL14group_norm_f32ILi1024EEvPKfPfiif.num_agpr, 0
	.set _ZL14group_norm_f32ILi1024EEvPKfPfiif.numbered_sgpr, 16
	.set _ZL14group_norm_f32ILi1024EEvPKfPfiif.num_named_barrier, 0
	.set _ZL14group_norm_f32ILi1024EEvPKfPfiif.private_seg_size, 0
	.set _ZL14group_norm_f32ILi1024EEvPKfPfiif.uses_vcc, 1
	.set _ZL14group_norm_f32ILi1024EEvPKfPfiif.uses_flat_scratch, 0
	.set _ZL14group_norm_f32ILi1024EEvPKfPfiif.has_dyn_sized_stack, 0
	.set _ZL14group_norm_f32ILi1024EEvPKfPfiif.has_recursion, 0
	.set _ZL14group_norm_f32ILi1024EEvPKfPfiif.has_indirect_call, 0
	.section	.AMDGPU.csdata,"",@progbits
; Kernel info:
; codeLenInByte = 1136
; TotalNumSgprs: 20
; NumVgprs: 19
; ScratchSize: 0
; MemoryBound: 0
; FloatMode: 240
; IeeeMode: 1
; LDSByteSize: 0 bytes/workgroup (compile time only)
; SGPRBlocks: 2
; VGPRBlocks: 4
; NumSGPRsForWavesPerEU: 20
; NumVGPRsForWavesPerEU: 19
; Occupancy: 10
; WaveLimiterHint : 0
; COMPUTE_PGM_RSRC2:SCRATCH_EN: 0
; COMPUTE_PGM_RSRC2:USER_SGPR: 6
; COMPUTE_PGM_RSRC2:TRAP_HANDLER: 0
; COMPUTE_PGM_RSRC2:TGID_X_EN: 1
; COMPUTE_PGM_RSRC2:TGID_Y_EN: 0
; COMPUTE_PGM_RSRC2:TGID_Z_EN: 0
; COMPUTE_PGM_RSRC2:TIDIG_COMP_CNT: 0
	.section	.text._ZL12rms_norm_f32ILi256ELb0ELb0EEvPKfPfilllfS1_lll15HIP_vector_typeIjLj3EES4_S4_S4_S1_lllS4_S4_S4_S4_,"axG",@progbits,_ZL12rms_norm_f32ILi256ELb0ELb0EEvPKfPfilllfS1_lll15HIP_vector_typeIjLj3EES4_S4_S4_S1_lllS4_S4_S4_S4_,comdat
	.globl	_ZL12rms_norm_f32ILi256ELb0ELb0EEvPKfPfilllfS1_lll15HIP_vector_typeIjLj3EES4_S4_S4_S1_lllS4_S4_S4_S4_ ; -- Begin function _ZL12rms_norm_f32ILi256ELb0ELb0EEvPKfPfilllfS1_lll15HIP_vector_typeIjLj3EES4_S4_S4_S1_lllS4_S4_S4_S4_
	.p2align	8
	.type	_ZL12rms_norm_f32ILi256ELb0ELb0EEvPKfPfilllfS1_lll15HIP_vector_typeIjLj3EES4_S4_S4_S1_lllS4_S4_S4_S4_,@function
_ZL12rms_norm_f32ILi256ELb0ELb0EEvPKfPfilllfS1_lll15HIP_vector_typeIjLj3EES4_S4_S4_S1_lllS4_S4_S4_S4_: ; @_ZL12rms_norm_f32ILi256ELb0ELb0EEvPKfPfilllfS1_lll15HIP_vector_typeIjLj3EES4_S4_S4_S1_lllS4_S4_S4_S4_
; %bb.0:
	s_load_dwordx4 s[12:15], s[4:5], 0x0
	s_load_dword s9, s[4:5], 0x10
	s_load_dwordx4 s[20:23], s[4:5], 0x18
	s_load_dwordx2 s[10:11], s[4:5], 0x28
	s_load_dwordx2 s[2:3], s[4:5], 0xd8
	s_ashr_i32 s16, s8, 31
	s_ashr_i32 s17, s7, 31
	s_ashr_i32 s19, s6, 31
	s_waitcnt lgkmcnt(0)
	v_cmp_gt_i32_e64 s[0:1], s9, v0
	v_mov_b32_e32 v4, 0
	s_mul_i32 s30, s10, s16
	s_mul_hi_u32 s33, s10, s8
	s_mul_i32 s27, s11, s8
	s_mul_i32 s16, s10, s8
	s_mul_i32 s29, s22, s17
	s_mul_hi_u32 s31, s22, s7
	s_mul_i32 s28, s23, s7
	s_mul_i32 s18, s22, s7
	;; [unrolled: 4-line block ×3, first 2 shown]
	v_lshlrev_b32_e32 v3, 2, v0
	s_and_saveexec_b64 s[20:21], s[0:1]
	s_cbranch_execz .LBB4_4
; %bb.1:
	s_add_i32 s11, s33, s30
	s_add_i32 s17, s11, s27
	;; [unrolled: 1-line block ×4, first 2 shown]
	s_lshl_b64 s[22:23], s[16:17], 2
	s_lshl_b64 s[34:35], s[18:19], 2
	s_add_u32 s17, s22, s34
	s_addc_u32 s19, s23, s35
	s_add_i32 s11, s25, s24
	s_add_i32 s11, s11, s26
	s_lshl_b64 s[22:23], s[10:11], 2
	s_add_u32 s11, s17, s22
	s_addc_u32 s17, s19, s23
	s_add_u32 s11, s12, s11
	s_addc_u32 s17, s13, s17
	v_mov_b32_e32 v2, s17
	v_add_co_u32_e32 v1, vcc, s11, v3
	v_mov_b32_e32 v4, 0
	v_addc_co_u32_e32 v2, vcc, 0, v2, vcc
	s_mov_b64 s[22:23], 0
	v_mov_b32_e32 v5, v0
.LBB4_2:                                ; =>This Inner Loop Header: Depth=1
	global_load_dword v6, v[1:2], off
	v_add_co_u32_e32 v1, vcc, 0x400, v1
	v_add_u32_e32 v5, 0x100, v5
	v_addc_co_u32_e32 v2, vcc, 0, v2, vcc
	v_cmp_le_i32_e32 vcc, s9, v5
	s_or_b64 s[22:23], vcc, s[22:23]
	s_waitcnt vmcnt(0)
	v_fmac_f32_e32 v4, v6, v6
	s_andn2_b64 exec, exec, s[22:23]
	s_cbranch_execnz .LBB4_2
; %bb.3:
	s_or_b64 exec, exec, s[22:23]
.LBB4_4:
	s_or_b64 exec, exec, s[20:21]
	v_mbcnt_lo_u32_b32 v1, -1, 0
	v_mbcnt_hi_u32_b32 v6, -1, v1
	v_and_b32_e32 v1, 0x60, v6
	v_add_u32_e32 v7, 32, v1
	v_xor_b32_e32 v1, 16, v6
	v_cmp_lt_i32_e32 vcc, v1, v7
	v_cndmask_b32_e32 v1, v6, v1, vcc
	v_lshlrev_b32_e32 v1, 2, v1
	ds_bpermute_b32 v2, v1, v4
	v_xor_b32_e32 v5, 8, v6
	v_cmp_lt_i32_e32 vcc, v5, v7
	v_xor_b32_e32 v8, 4, v6
	v_xor_b32_e32 v9, 2, v6
	s_waitcnt lgkmcnt(0)
	v_add_f32_e32 v4, v4, v2
	v_cndmask_b32_e32 v2, v6, v5, vcc
	v_lshlrev_b32_e32 v2, 2, v2
	ds_bpermute_b32 v5, v2, v4
	v_cmp_lt_i32_e32 vcc, v8, v7
	v_xor_b32_e32 v10, 1, v6
	s_waitcnt lgkmcnt(0)
	v_add_f32_e32 v5, v4, v5
	v_cndmask_b32_e32 v4, v6, v8, vcc
	v_lshlrev_b32_e32 v4, 2, v4
	ds_bpermute_b32 v8, v4, v5
	v_cmp_lt_i32_e32 vcc, v9, v7
	s_waitcnt lgkmcnt(0)
	v_add_f32_e32 v8, v5, v8
	v_cndmask_b32_e32 v5, v6, v9, vcc
	v_lshlrev_b32_e32 v5, 2, v5
	ds_bpermute_b32 v9, v5, v8
	v_cmp_lt_i32_e32 vcc, v10, v7
	v_cndmask_b32_e32 v6, v6, v10, vcc
	v_lshlrev_b32_e32 v6, 2, v6
	v_and_b32_e32 v7, 31, v0
	s_waitcnt lgkmcnt(0)
	v_add_f32_e32 v8, v8, v9
	ds_bpermute_b32 v9, v6, v8
	v_cmp_eq_u32_e32 vcc, 0, v7
	s_and_saveexec_b64 s[20:21], vcc
	s_cbranch_execz .LBB4_6
; %bb.5:
	s_waitcnt lgkmcnt(0)
	v_add_f32_e32 v8, v8, v9
	v_lshrrev_b32_e32 v9, 3, v0
	v_add_u32_e32 v9, 0, v9
	ds_write_b32 v9, v8
.LBB4_6:
	s_or_b64 exec, exec, s[20:21]
	v_cmp_gt_u32_e32 vcc, 8, v7
	v_mov_b32_e32 v8, 0
	s_waitcnt lgkmcnt(0)
	s_barrier
	s_and_saveexec_b64 s[20:21], vcc
; %bb.7:
	v_lshl_add_u32 v7, v7, 2, 0
	ds_read_b32 v8, v7
; %bb.8:
	s_or_b64 exec, exec, s[20:21]
	s_waitcnt lgkmcnt(0)
	ds_bpermute_b32 v1, v1, v8
	s_waitcnt lgkmcnt(0)
	v_add_f32_e32 v1, v8, v1
	ds_bpermute_b32 v2, v2, v1
	s_waitcnt lgkmcnt(0)
	v_add_f32_e32 v1, v1, v2
	;; [unrolled: 3-line block ×4, first 2 shown]
	ds_bpermute_b32 v2, v6, v1
	s_and_saveexec_b64 s[20:21], s[0:1]
	s_cbranch_execz .LBB4_11
; %bb.9:
	v_cvt_f32_i32_e32 v4, s9
	s_waitcnt lgkmcnt(0)
	v_add_f32_e32 v1, v1, v2
	s_load_dword s20, s[4:5], 0x30
	s_mov_b32 s21, 0x800000
	v_div_scale_f32 v2, s[0:1], v4, v4, v1
	v_div_scale_f32 v5, vcc, v1, v4, v1
	s_mul_i32 s0, s3, s8
	s_add_i32 s0, s0, s7
	s_mul_i32 s4, s0, s2
	s_add_i32 s1, s33, s30
	s_add_i32 s3, s31, s29
	;; [unrolled: 1-line block ×5, first 2 shown]
	s_mul_i32 s4, s4, s9
	s_lshl_b64 s[0:1], s[16:17], 2
	s_lshl_b64 s[2:3], s[18:19], 2
	s_ashr_i32 s5, s4, 31
	v_rcp_f32_e32 v6, v2
	s_add_u32 s2, s0, s2
	s_addc_u32 s3, s1, s3
	s_add_i32 s0, s25, s24
	v_fma_f32 v7, -v2, v6, 1.0
	v_fmac_f32_e32 v6, v7, v6
	v_mul_f32_e32 v7, v5, v6
	v_fma_f32 v8, -v2, v7, v5
	v_fmac_f32_e32 v7, v8, v6
	v_fma_f32 v2, -v2, v7, v5
	v_div_fmas_f32 v2, v2, v6, v7
	s_add_i32 s11, s0, s26
	s_lshl_b64 s[0:1], s[10:11], 2
	s_add_u32 s0, s2, s0
	s_addc_u32 s1, s3, s1
	s_add_u32 s0, s12, s0
	s_addc_u32 s1, s13, s1
	s_lshl_b64 s[2:3], s[4:5], 2
	v_mov_b32_e32 v5, s1
	s_add_u32 s2, s14, s2
	v_div_fixup_f32 v1, v2, v4, v1
	s_waitcnt lgkmcnt(0)
	v_add_f32_e32 v1, s20, v1
	v_mul_f32_e32 v2, 0x4b800000, v1
	v_cmp_gt_f32_e32 vcc, s21, v1
	v_cndmask_b32_e32 v1, v1, v2, vcc
	v_rsq_f32_e32 v4, v1
	v_add_co_u32_e64 v1, s[0:1], s0, v3
	v_addc_co_u32_e64 v2, s[0:1], 0, v5, s[0:1]
	s_addc_u32 s0, s15, s3
	v_mul_f32_e32 v5, 0x45800000, v4
	v_mov_b32_e32 v6, s0
	v_cndmask_b32_e32 v5, v4, v5, vcc
	v_add_co_u32_e32 v3, vcc, s2, v3
	v_addc_co_u32_e32 v4, vcc, 0, v6, vcc
	s_mov_b64 s[0:1], 0
.LBB4_10:                               ; =>This Inner Loop Header: Depth=1
	global_load_dword v6, v[1:2], off
	v_add_co_u32_e32 v1, vcc, 0x400, v1
	v_add_u32_e32 v0, 0x100, v0
	v_addc_co_u32_e32 v2, vcc, 0, v2, vcc
	v_cmp_le_i32_e32 vcc, s9, v0
	s_or_b64 s[0:1], vcc, s[0:1]
	s_waitcnt vmcnt(0)
	v_mul_f32_e32 v6, v5, v6
	global_store_dword v[3:4], v6, off
	v_add_co_u32_e32 v3, vcc, 0x400, v3
	v_addc_co_u32_e32 v4, vcc, 0, v4, vcc
	s_andn2_b64 exec, exec, s[0:1]
	s_cbranch_execnz .LBB4_10
.LBB4_11:
	s_endpgm
	.section	.rodata,"a",@progbits
	.p2align	6, 0x0
	.amdhsa_kernel _ZL12rms_norm_f32ILi256ELb0ELb0EEvPKfPfilllfS1_lll15HIP_vector_typeIjLj3EES4_S4_S4_S1_lllS4_S4_S4_S4_
		.amdhsa_group_segment_fixed_size 0
		.amdhsa_private_segment_fixed_size 0
		.amdhsa_kernarg_size 472
		.amdhsa_user_sgpr_count 6
		.amdhsa_user_sgpr_private_segment_buffer 1
		.amdhsa_user_sgpr_dispatch_ptr 0
		.amdhsa_user_sgpr_queue_ptr 0
		.amdhsa_user_sgpr_kernarg_segment_ptr 1
		.amdhsa_user_sgpr_dispatch_id 0
		.amdhsa_user_sgpr_flat_scratch_init 0
		.amdhsa_user_sgpr_private_segment_size 0
		.amdhsa_uses_dynamic_stack 0
		.amdhsa_system_sgpr_private_segment_wavefront_offset 0
		.amdhsa_system_sgpr_workgroup_id_x 1
		.amdhsa_system_sgpr_workgroup_id_y 1
		.amdhsa_system_sgpr_workgroup_id_z 1
		.amdhsa_system_sgpr_workgroup_info 0
		.amdhsa_system_vgpr_workitem_id 0
		.amdhsa_next_free_vgpr 11
		.amdhsa_next_free_sgpr 36
		.amdhsa_reserve_vcc 1
		.amdhsa_reserve_flat_scratch 0
		.amdhsa_float_round_mode_32 0
		.amdhsa_float_round_mode_16_64 0
		.amdhsa_float_denorm_mode_32 3
		.amdhsa_float_denorm_mode_16_64 3
		.amdhsa_dx10_clamp 1
		.amdhsa_ieee_mode 1
		.amdhsa_fp16_overflow 0
		.amdhsa_exception_fp_ieee_invalid_op 0
		.amdhsa_exception_fp_denorm_src 0
		.amdhsa_exception_fp_ieee_div_zero 0
		.amdhsa_exception_fp_ieee_overflow 0
		.amdhsa_exception_fp_ieee_underflow 0
		.amdhsa_exception_fp_ieee_inexact 0
		.amdhsa_exception_int_div_zero 0
	.end_amdhsa_kernel
	.section	.text._ZL12rms_norm_f32ILi256ELb0ELb0EEvPKfPfilllfS1_lll15HIP_vector_typeIjLj3EES4_S4_S4_S1_lllS4_S4_S4_S4_,"axG",@progbits,_ZL12rms_norm_f32ILi256ELb0ELb0EEvPKfPfilllfS1_lll15HIP_vector_typeIjLj3EES4_S4_S4_S1_lllS4_S4_S4_S4_,comdat
.Lfunc_end4:
	.size	_ZL12rms_norm_f32ILi256ELb0ELb0EEvPKfPfilllfS1_lll15HIP_vector_typeIjLj3EES4_S4_S4_S1_lllS4_S4_S4_S4_, .Lfunc_end4-_ZL12rms_norm_f32ILi256ELb0ELb0EEvPKfPfilllfS1_lll15HIP_vector_typeIjLj3EES4_S4_S4_S1_lllS4_S4_S4_S4_
                                        ; -- End function
	.set _ZL12rms_norm_f32ILi256ELb0ELb0EEvPKfPfilllfS1_lll15HIP_vector_typeIjLj3EES4_S4_S4_S1_lllS4_S4_S4_S4_.num_vgpr, 11
	.set _ZL12rms_norm_f32ILi256ELb0ELb0EEvPKfPfilllfS1_lll15HIP_vector_typeIjLj3EES4_S4_S4_S1_lllS4_S4_S4_S4_.num_agpr, 0
	.set _ZL12rms_norm_f32ILi256ELb0ELb0EEvPKfPfilllfS1_lll15HIP_vector_typeIjLj3EES4_S4_S4_S1_lllS4_S4_S4_S4_.numbered_sgpr, 36
	.set _ZL12rms_norm_f32ILi256ELb0ELb0EEvPKfPfilllfS1_lll15HIP_vector_typeIjLj3EES4_S4_S4_S1_lllS4_S4_S4_S4_.num_named_barrier, 0
	.set _ZL12rms_norm_f32ILi256ELb0ELb0EEvPKfPfilllfS1_lll15HIP_vector_typeIjLj3EES4_S4_S4_S1_lllS4_S4_S4_S4_.private_seg_size, 0
	.set _ZL12rms_norm_f32ILi256ELb0ELb0EEvPKfPfilllfS1_lll15HIP_vector_typeIjLj3EES4_S4_S4_S1_lllS4_S4_S4_S4_.uses_vcc, 1
	.set _ZL12rms_norm_f32ILi256ELb0ELb0EEvPKfPfilllfS1_lll15HIP_vector_typeIjLj3EES4_S4_S4_S1_lllS4_S4_S4_S4_.uses_flat_scratch, 0
	.set _ZL12rms_norm_f32ILi256ELb0ELb0EEvPKfPfilllfS1_lll15HIP_vector_typeIjLj3EES4_S4_S4_S1_lllS4_S4_S4_S4_.has_dyn_sized_stack, 0
	.set _ZL12rms_norm_f32ILi256ELb0ELb0EEvPKfPfilllfS1_lll15HIP_vector_typeIjLj3EES4_S4_S4_S1_lllS4_S4_S4_S4_.has_recursion, 0
	.set _ZL12rms_norm_f32ILi256ELb0ELb0EEvPKfPfilllfS1_lll15HIP_vector_typeIjLj3EES4_S4_S4_S1_lllS4_S4_S4_S4_.has_indirect_call, 0
	.section	.AMDGPU.csdata,"",@progbits
; Kernel info:
; codeLenInByte = 968
; TotalNumSgprs: 40
; NumVgprs: 11
; ScratchSize: 0
; MemoryBound: 0
; FloatMode: 240
; IeeeMode: 1
; LDSByteSize: 0 bytes/workgroup (compile time only)
; SGPRBlocks: 4
; VGPRBlocks: 2
; NumSGPRsForWavesPerEU: 40
; NumVGPRsForWavesPerEU: 11
; Occupancy: 10
; WaveLimiterHint : 0
; COMPUTE_PGM_RSRC2:SCRATCH_EN: 0
; COMPUTE_PGM_RSRC2:USER_SGPR: 6
; COMPUTE_PGM_RSRC2:TRAP_HANDLER: 0
; COMPUTE_PGM_RSRC2:TGID_X_EN: 1
; COMPUTE_PGM_RSRC2:TGID_Y_EN: 1
; COMPUTE_PGM_RSRC2:TGID_Z_EN: 1
; COMPUTE_PGM_RSRC2:TIDIG_COMP_CNT: 0
	.section	.text._ZL12rms_norm_f32ILi1024ELb0ELb0EEvPKfPfilllfS1_lll15HIP_vector_typeIjLj3EES4_S4_S4_S1_lllS4_S4_S4_S4_,"axG",@progbits,_ZL12rms_norm_f32ILi1024ELb0ELb0EEvPKfPfilllfS1_lll15HIP_vector_typeIjLj3EES4_S4_S4_S1_lllS4_S4_S4_S4_,comdat
	.globl	_ZL12rms_norm_f32ILi1024ELb0ELb0EEvPKfPfilllfS1_lll15HIP_vector_typeIjLj3EES4_S4_S4_S1_lllS4_S4_S4_S4_ ; -- Begin function _ZL12rms_norm_f32ILi1024ELb0ELb0EEvPKfPfilllfS1_lll15HIP_vector_typeIjLj3EES4_S4_S4_S1_lllS4_S4_S4_S4_
	.p2align	8
	.type	_ZL12rms_norm_f32ILi1024ELb0ELb0EEvPKfPfilllfS1_lll15HIP_vector_typeIjLj3EES4_S4_S4_S1_lllS4_S4_S4_S4_,@function
_ZL12rms_norm_f32ILi1024ELb0ELb0EEvPKfPfilllfS1_lll15HIP_vector_typeIjLj3EES4_S4_S4_S1_lllS4_S4_S4_S4_: ; @_ZL12rms_norm_f32ILi1024ELb0ELb0EEvPKfPfilllfS1_lll15HIP_vector_typeIjLj3EES4_S4_S4_S1_lllS4_S4_S4_S4_
; %bb.0:
	s_load_dwordx4 s[12:15], s[4:5], 0x0
	s_load_dword s9, s[4:5], 0x10
	s_load_dwordx4 s[20:23], s[4:5], 0x18
	s_load_dwordx2 s[10:11], s[4:5], 0x28
	s_load_dwordx2 s[2:3], s[4:5], 0xd8
	s_ashr_i32 s16, s8, 31
	s_ashr_i32 s17, s7, 31
	s_ashr_i32 s19, s6, 31
	s_waitcnt lgkmcnt(0)
	v_cmp_gt_i32_e64 s[0:1], s9, v0
	v_mov_b32_e32 v4, 0
	s_mul_i32 s30, s10, s16
	s_mul_hi_u32 s33, s10, s8
	s_mul_i32 s27, s11, s8
	s_mul_i32 s16, s10, s8
	s_mul_i32 s29, s22, s17
	s_mul_hi_u32 s31, s22, s7
	s_mul_i32 s28, s23, s7
	s_mul_i32 s18, s22, s7
	;; [unrolled: 4-line block ×3, first 2 shown]
	v_lshlrev_b32_e32 v3, 2, v0
	s_and_saveexec_b64 s[20:21], s[0:1]
	s_cbranch_execz .LBB5_4
; %bb.1:
	s_add_i32 s11, s33, s30
	s_add_i32 s17, s11, s27
	;; [unrolled: 1-line block ×4, first 2 shown]
	s_lshl_b64 s[22:23], s[16:17], 2
	s_lshl_b64 s[34:35], s[18:19], 2
	s_add_u32 s17, s22, s34
	s_addc_u32 s19, s23, s35
	s_add_i32 s11, s25, s24
	s_add_i32 s11, s11, s26
	s_lshl_b64 s[22:23], s[10:11], 2
	s_add_u32 s11, s17, s22
	s_addc_u32 s17, s19, s23
	s_add_u32 s11, s12, s11
	s_addc_u32 s17, s13, s17
	v_mov_b32_e32 v2, s17
	v_add_co_u32_e32 v1, vcc, s11, v3
	v_mov_b32_e32 v4, 0
	v_addc_co_u32_e32 v2, vcc, 0, v2, vcc
	s_mov_b64 s[22:23], 0
	v_mov_b32_e32 v5, v0
.LBB5_2:                                ; =>This Inner Loop Header: Depth=1
	global_load_dword v6, v[1:2], off
	v_add_co_u32_e32 v1, vcc, 0x1000, v1
	v_add_u32_e32 v5, 0x400, v5
	v_addc_co_u32_e32 v2, vcc, 0, v2, vcc
	v_cmp_le_i32_e32 vcc, s9, v5
	s_or_b64 s[22:23], vcc, s[22:23]
	s_waitcnt vmcnt(0)
	v_fmac_f32_e32 v4, v6, v6
	s_andn2_b64 exec, exec, s[22:23]
	s_cbranch_execnz .LBB5_2
; %bb.3:
	s_or_b64 exec, exec, s[22:23]
.LBB5_4:
	s_or_b64 exec, exec, s[20:21]
	v_mbcnt_lo_u32_b32 v1, -1, 0
	v_mbcnt_hi_u32_b32 v6, -1, v1
	v_and_b32_e32 v1, 0x60, v6
	v_add_u32_e32 v7, 32, v1
	v_xor_b32_e32 v1, 16, v6
	v_cmp_lt_i32_e32 vcc, v1, v7
	v_cndmask_b32_e32 v1, v6, v1, vcc
	v_lshlrev_b32_e32 v1, 2, v1
	ds_bpermute_b32 v2, v1, v4
	v_xor_b32_e32 v5, 8, v6
	v_cmp_lt_i32_e32 vcc, v5, v7
	v_xor_b32_e32 v8, 4, v6
	v_xor_b32_e32 v9, 2, v6
	s_waitcnt lgkmcnt(0)
	v_add_f32_e32 v4, v4, v2
	v_cndmask_b32_e32 v2, v6, v5, vcc
	v_lshlrev_b32_e32 v2, 2, v2
	ds_bpermute_b32 v5, v2, v4
	v_cmp_lt_i32_e32 vcc, v8, v7
	v_xor_b32_e32 v10, 1, v6
	s_waitcnt lgkmcnt(0)
	v_add_f32_e32 v5, v4, v5
	v_cndmask_b32_e32 v4, v6, v8, vcc
	v_lshlrev_b32_e32 v4, 2, v4
	ds_bpermute_b32 v8, v4, v5
	v_cmp_lt_i32_e32 vcc, v9, v7
	s_waitcnt lgkmcnt(0)
	v_add_f32_e32 v8, v5, v8
	v_cndmask_b32_e32 v5, v6, v9, vcc
	v_lshlrev_b32_e32 v5, 2, v5
	ds_bpermute_b32 v9, v5, v8
	v_cmp_lt_i32_e32 vcc, v10, v7
	v_cndmask_b32_e32 v6, v6, v10, vcc
	v_lshlrev_b32_e32 v6, 2, v6
	v_and_b32_e32 v7, 31, v0
	s_waitcnt lgkmcnt(0)
	v_add_f32_e32 v8, v8, v9
	ds_bpermute_b32 v9, v6, v8
	v_cmp_eq_u32_e32 vcc, 0, v7
	s_and_saveexec_b64 s[20:21], vcc
	s_cbranch_execz .LBB5_6
; %bb.5:
	s_waitcnt lgkmcnt(0)
	v_add_f32_e32 v8, v8, v9
	v_lshrrev_b32_e32 v9, 3, v0
	v_add_u32_e32 v9, 0, v9
	ds_write_b32 v9, v8
.LBB5_6:
	s_or_b64 exec, exec, s[20:21]
	v_lshl_add_u32 v7, v7, 2, 0
	s_waitcnt lgkmcnt(0)
	s_barrier
	ds_read_b32 v7, v7
	s_waitcnt lgkmcnt(0)
	ds_bpermute_b32 v1, v1, v7
	s_waitcnt lgkmcnt(0)
	v_add_f32_e32 v1, v7, v1
	ds_bpermute_b32 v2, v2, v1
	s_waitcnt lgkmcnt(0)
	v_add_f32_e32 v1, v1, v2
	;; [unrolled: 3-line block ×4, first 2 shown]
	ds_bpermute_b32 v2, v6, v1
	s_and_saveexec_b64 s[20:21], s[0:1]
	s_cbranch_execz .LBB5_9
; %bb.7:
	v_cvt_f32_i32_e32 v4, s9
	s_waitcnt lgkmcnt(0)
	v_add_f32_e32 v1, v1, v2
	s_load_dword s20, s[4:5], 0x30
	s_mov_b32 s21, 0x800000
	v_div_scale_f32 v2, s[0:1], v4, v4, v1
	v_div_scale_f32 v5, vcc, v1, v4, v1
	s_mul_i32 s0, s3, s8
	s_add_i32 s0, s0, s7
	s_mul_i32 s4, s0, s2
	s_add_i32 s1, s33, s30
	s_add_i32 s3, s31, s29
	;; [unrolled: 1-line block ×5, first 2 shown]
	s_mul_i32 s4, s4, s9
	s_lshl_b64 s[0:1], s[16:17], 2
	s_lshl_b64 s[2:3], s[18:19], 2
	s_ashr_i32 s5, s4, 31
	v_rcp_f32_e32 v6, v2
	s_add_u32 s2, s0, s2
	s_addc_u32 s3, s1, s3
	s_add_i32 s0, s25, s24
	v_fma_f32 v7, -v2, v6, 1.0
	v_fmac_f32_e32 v6, v7, v6
	v_mul_f32_e32 v7, v5, v6
	v_fma_f32 v8, -v2, v7, v5
	v_fmac_f32_e32 v7, v8, v6
	v_fma_f32 v2, -v2, v7, v5
	v_div_fmas_f32 v2, v2, v6, v7
	s_add_i32 s11, s0, s26
	s_lshl_b64 s[0:1], s[10:11], 2
	s_add_u32 s0, s2, s0
	s_addc_u32 s1, s3, s1
	s_add_u32 s0, s12, s0
	s_addc_u32 s1, s13, s1
	s_lshl_b64 s[2:3], s[4:5], 2
	v_mov_b32_e32 v5, s1
	s_add_u32 s2, s14, s2
	v_div_fixup_f32 v1, v2, v4, v1
	s_waitcnt lgkmcnt(0)
	v_add_f32_e32 v1, s20, v1
	v_mul_f32_e32 v2, 0x4b800000, v1
	v_cmp_gt_f32_e32 vcc, s21, v1
	v_cndmask_b32_e32 v1, v1, v2, vcc
	v_rsq_f32_e32 v4, v1
	v_add_co_u32_e64 v1, s[0:1], s0, v3
	v_addc_co_u32_e64 v2, s[0:1], 0, v5, s[0:1]
	s_addc_u32 s0, s15, s3
	v_mul_f32_e32 v5, 0x45800000, v4
	v_mov_b32_e32 v6, s0
	v_cndmask_b32_e32 v5, v4, v5, vcc
	v_add_co_u32_e32 v3, vcc, s2, v3
	v_addc_co_u32_e32 v4, vcc, 0, v6, vcc
	s_mov_b64 s[0:1], 0
.LBB5_8:                                ; =>This Inner Loop Header: Depth=1
	global_load_dword v6, v[1:2], off
	v_add_co_u32_e32 v1, vcc, 0x1000, v1
	v_add_u32_e32 v0, 0x400, v0
	v_addc_co_u32_e32 v2, vcc, 0, v2, vcc
	v_cmp_le_i32_e32 vcc, s9, v0
	s_or_b64 s[0:1], vcc, s[0:1]
	s_waitcnt vmcnt(0)
	v_mul_f32_e32 v6, v5, v6
	global_store_dword v[3:4], v6, off
	v_add_co_u32_e32 v3, vcc, 0x1000, v3
	v_addc_co_u32_e32 v4, vcc, 0, v4, vcc
	s_andn2_b64 exec, exec, s[0:1]
	s_cbranch_execnz .LBB5_8
.LBB5_9:
	s_endpgm
	.section	.rodata,"a",@progbits
	.p2align	6, 0x0
	.amdhsa_kernel _ZL12rms_norm_f32ILi1024ELb0ELb0EEvPKfPfilllfS1_lll15HIP_vector_typeIjLj3EES4_S4_S4_S1_lllS4_S4_S4_S4_
		.amdhsa_group_segment_fixed_size 0
		.amdhsa_private_segment_fixed_size 0
		.amdhsa_kernarg_size 472
		.amdhsa_user_sgpr_count 6
		.amdhsa_user_sgpr_private_segment_buffer 1
		.amdhsa_user_sgpr_dispatch_ptr 0
		.amdhsa_user_sgpr_queue_ptr 0
		.amdhsa_user_sgpr_kernarg_segment_ptr 1
		.amdhsa_user_sgpr_dispatch_id 0
		.amdhsa_user_sgpr_flat_scratch_init 0
		.amdhsa_user_sgpr_private_segment_size 0
		.amdhsa_uses_dynamic_stack 0
		.amdhsa_system_sgpr_private_segment_wavefront_offset 0
		.amdhsa_system_sgpr_workgroup_id_x 1
		.amdhsa_system_sgpr_workgroup_id_y 1
		.amdhsa_system_sgpr_workgroup_id_z 1
		.amdhsa_system_sgpr_workgroup_info 0
		.amdhsa_system_vgpr_workitem_id 0
		.amdhsa_next_free_vgpr 11
		.amdhsa_next_free_sgpr 36
		.amdhsa_reserve_vcc 1
		.amdhsa_reserve_flat_scratch 0
		.amdhsa_float_round_mode_32 0
		.amdhsa_float_round_mode_16_64 0
		.amdhsa_float_denorm_mode_32 3
		.amdhsa_float_denorm_mode_16_64 3
		.amdhsa_dx10_clamp 1
		.amdhsa_ieee_mode 1
		.amdhsa_fp16_overflow 0
		.amdhsa_exception_fp_ieee_invalid_op 0
		.amdhsa_exception_fp_denorm_src 0
		.amdhsa_exception_fp_ieee_div_zero 0
		.amdhsa_exception_fp_ieee_overflow 0
		.amdhsa_exception_fp_ieee_underflow 0
		.amdhsa_exception_fp_ieee_inexact 0
		.amdhsa_exception_int_div_zero 0
	.end_amdhsa_kernel
	.section	.text._ZL12rms_norm_f32ILi1024ELb0ELb0EEvPKfPfilllfS1_lll15HIP_vector_typeIjLj3EES4_S4_S4_S1_lllS4_S4_S4_S4_,"axG",@progbits,_ZL12rms_norm_f32ILi1024ELb0ELb0EEvPKfPfilllfS1_lll15HIP_vector_typeIjLj3EES4_S4_S4_S1_lllS4_S4_S4_S4_,comdat
.Lfunc_end5:
	.size	_ZL12rms_norm_f32ILi1024ELb0ELb0EEvPKfPfilllfS1_lll15HIP_vector_typeIjLj3EES4_S4_S4_S1_lllS4_S4_S4_S4_, .Lfunc_end5-_ZL12rms_norm_f32ILi1024ELb0ELb0EEvPKfPfilllfS1_lll15HIP_vector_typeIjLj3EES4_S4_S4_S1_lllS4_S4_S4_S4_
                                        ; -- End function
	.set _ZL12rms_norm_f32ILi1024ELb0ELb0EEvPKfPfilllfS1_lll15HIP_vector_typeIjLj3EES4_S4_S4_S1_lllS4_S4_S4_S4_.num_vgpr, 11
	.set _ZL12rms_norm_f32ILi1024ELb0ELb0EEvPKfPfilllfS1_lll15HIP_vector_typeIjLj3EES4_S4_S4_S1_lllS4_S4_S4_S4_.num_agpr, 0
	.set _ZL12rms_norm_f32ILi1024ELb0ELb0EEvPKfPfilllfS1_lll15HIP_vector_typeIjLj3EES4_S4_S4_S1_lllS4_S4_S4_S4_.numbered_sgpr, 36
	.set _ZL12rms_norm_f32ILi1024ELb0ELb0EEvPKfPfilllfS1_lll15HIP_vector_typeIjLj3EES4_S4_S4_S1_lllS4_S4_S4_S4_.num_named_barrier, 0
	.set _ZL12rms_norm_f32ILi1024ELb0ELb0EEvPKfPfilllfS1_lll15HIP_vector_typeIjLj3EES4_S4_S4_S1_lllS4_S4_S4_S4_.private_seg_size, 0
	.set _ZL12rms_norm_f32ILi1024ELb0ELb0EEvPKfPfilllfS1_lll15HIP_vector_typeIjLj3EES4_S4_S4_S1_lllS4_S4_S4_S4_.uses_vcc, 1
	.set _ZL12rms_norm_f32ILi1024ELb0ELb0EEvPKfPfilllfS1_lll15HIP_vector_typeIjLj3EES4_S4_S4_S1_lllS4_S4_S4_S4_.uses_flat_scratch, 0
	.set _ZL12rms_norm_f32ILi1024ELb0ELb0EEvPKfPfilllfS1_lll15HIP_vector_typeIjLj3EES4_S4_S4_S1_lllS4_S4_S4_S4_.has_dyn_sized_stack, 0
	.set _ZL12rms_norm_f32ILi1024ELb0ELb0EEvPKfPfilllfS1_lll15HIP_vector_typeIjLj3EES4_S4_S4_S1_lllS4_S4_S4_S4_.has_recursion, 0
	.set _ZL12rms_norm_f32ILi1024ELb0ELb0EEvPKfPfilllfS1_lll15HIP_vector_typeIjLj3EES4_S4_S4_S1_lllS4_S4_S4_S4_.has_indirect_call, 0
	.section	.AMDGPU.csdata,"",@progbits
; Kernel info:
; codeLenInByte = 952
; TotalNumSgprs: 40
; NumVgprs: 11
; ScratchSize: 0
; MemoryBound: 0
; FloatMode: 240
; IeeeMode: 1
; LDSByteSize: 0 bytes/workgroup (compile time only)
; SGPRBlocks: 4
; VGPRBlocks: 2
; NumSGPRsForWavesPerEU: 40
; NumVGPRsForWavesPerEU: 11
; Occupancy: 10
; WaveLimiterHint : 0
; COMPUTE_PGM_RSRC2:SCRATCH_EN: 0
; COMPUTE_PGM_RSRC2:USER_SGPR: 6
; COMPUTE_PGM_RSRC2:TRAP_HANDLER: 0
; COMPUTE_PGM_RSRC2:TGID_X_EN: 1
; COMPUTE_PGM_RSRC2:TGID_Y_EN: 1
; COMPUTE_PGM_RSRC2:TGID_Z_EN: 1
; COMPUTE_PGM_RSRC2:TIDIG_COMP_CNT: 0
	.section	.text._ZL12rms_norm_f32ILi256ELb1ELb0EEvPKfPfilllfS1_lll15HIP_vector_typeIjLj3EES4_S4_S4_S1_lllS4_S4_S4_S4_,"axG",@progbits,_ZL12rms_norm_f32ILi256ELb1ELb0EEvPKfPfilllfS1_lll15HIP_vector_typeIjLj3EES4_S4_S4_S1_lllS4_S4_S4_S4_,comdat
	.globl	_ZL12rms_norm_f32ILi256ELb1ELb0EEvPKfPfilllfS1_lll15HIP_vector_typeIjLj3EES4_S4_S4_S1_lllS4_S4_S4_S4_ ; -- Begin function _ZL12rms_norm_f32ILi256ELb1ELb0EEvPKfPfilllfS1_lll15HIP_vector_typeIjLj3EES4_S4_S4_S1_lllS4_S4_S4_S4_
	.p2align	8
	.type	_ZL12rms_norm_f32ILi256ELb1ELb0EEvPKfPfilllfS1_lll15HIP_vector_typeIjLj3EES4_S4_S4_S1_lllS4_S4_S4_S4_,@function
_ZL12rms_norm_f32ILi256ELb1ELb0EEvPKfPfilllfS1_lll15HIP_vector_typeIjLj3EES4_S4_S4_S1_lllS4_S4_S4_S4_: ; @_ZL12rms_norm_f32ILi256ELb1ELb0EEvPKfPfilllfS1_lll15HIP_vector_typeIjLj3EES4_S4_S4_S1_lllS4_S4_S4_S4_
; %bb.0:
	s_load_dwordx4 s[28:31], s[4:5], 0x0
	s_load_dword s9, s[4:5], 0x10
	s_load_dwordx4 s[20:23], s[4:5], 0x18
	s_load_dwordx2 s[2:3], s[4:5], 0x28
	s_load_dwordx8 s[12:19], s[4:5], 0x58
	s_load_dwordx4 s[36:39], s[4:5], 0x78
	s_load_dwordx2 s[40:41], s[4:5], 0xd8
	s_ashr_i32 s10, s8, 31
	s_ashr_i32 s11, s7, 31
	;; [unrolled: 1-line block ×3, first 2 shown]
	s_waitcnt lgkmcnt(0)
	v_cmp_gt_i32_e64 s[0:1], s9, v0
	v_mov_b32_e32 v4, 0
	s_mul_i32 s45, s2, s10
	s_mul_hi_u32 s48, s2, s8
	s_mul_i32 s49, s3, s8
	s_mul_i32 s34, s2, s8
	s_mul_i32 s44, s22, s11
	s_mul_hi_u32 s46, s22, s7
	s_mul_i32 s47, s23, s7
	s_mul_i32 s10, s22, s7
	s_mul_i32 s33, s20, s24
	s_mul_hi_u32 s42, s20, s6
	s_mul_i32 s43, s21, s6
	s_mul_i32 s2, s20, s6
	v_lshlrev_b32_e32 v3, 2, v0
	s_and_saveexec_b64 s[20:21], s[0:1]
	s_cbranch_execz .LBB6_4
; %bb.1:
	s_add_i32 s3, s48, s45
	s_add_i32 s35, s3, s49
	;; [unrolled: 1-line block ×4, first 2 shown]
	s_lshl_b64 s[22:23], s[34:35], 2
	s_lshl_b64 s[24:25], s[10:11], 2
	s_add_u32 s11, s22, s24
	s_addc_u32 s24, s23, s25
	s_add_i32 s3, s42, s33
	s_add_i32 s3, s3, s43
	s_lshl_b64 s[22:23], s[2:3], 2
	s_add_u32 s3, s11, s22
	s_addc_u32 s11, s24, s23
	s_add_u32 s3, s28, s3
	s_addc_u32 s11, s29, s11
	v_mov_b32_e32 v2, s11
	v_add_co_u32_e32 v1, vcc, s3, v3
	v_mov_b32_e32 v4, 0
	v_addc_co_u32_e32 v2, vcc, 0, v2, vcc
	s_mov_b64 s[22:23], 0
	v_mov_b32_e32 v5, v0
.LBB6_2:                                ; =>This Inner Loop Header: Depth=1
	global_load_dword v6, v[1:2], off
	v_add_co_u32_e32 v1, vcc, 0x400, v1
	v_add_u32_e32 v5, 0x100, v5
	v_addc_co_u32_e32 v2, vcc, 0, v2, vcc
	v_cmp_le_i32_e32 vcc, s9, v5
	s_or_b64 s[22:23], vcc, s[22:23]
	s_waitcnt vmcnt(0)
	v_fmac_f32_e32 v4, v6, v6
	s_andn2_b64 exec, exec, s[22:23]
	s_cbranch_execnz .LBB6_2
; %bb.3:
	s_or_b64 exec, exec, s[22:23]
.LBB6_4:
	s_or_b64 exec, exec, s[20:21]
	v_mbcnt_lo_u32_b32 v1, -1, 0
	v_mbcnt_hi_u32_b32 v6, -1, v1
	v_and_b32_e32 v1, 0x60, v6
	v_add_u32_e32 v7, 32, v1
	v_xor_b32_e32 v1, 16, v6
	v_cmp_lt_i32_e32 vcc, v1, v7
	v_cndmask_b32_e32 v1, v6, v1, vcc
	v_lshlrev_b32_e32 v1, 2, v1
	ds_bpermute_b32 v2, v1, v4
	v_xor_b32_e32 v5, 8, v6
	v_cmp_lt_i32_e32 vcc, v5, v7
	v_xor_b32_e32 v8, 4, v6
	v_xor_b32_e32 v9, 2, v6
	s_waitcnt lgkmcnt(0)
	v_add_f32_e32 v4, v4, v2
	v_cndmask_b32_e32 v2, v6, v5, vcc
	v_lshlrev_b32_e32 v2, 2, v2
	ds_bpermute_b32 v5, v2, v4
	v_cmp_lt_i32_e32 vcc, v8, v7
	v_xor_b32_e32 v10, 1, v6
	s_waitcnt lgkmcnt(0)
	v_add_f32_e32 v5, v4, v5
	v_cndmask_b32_e32 v4, v6, v8, vcc
	v_lshlrev_b32_e32 v4, 2, v4
	ds_bpermute_b32 v8, v4, v5
	v_cmp_lt_i32_e32 vcc, v9, v7
	s_waitcnt lgkmcnt(0)
	v_add_f32_e32 v8, v5, v8
	v_cndmask_b32_e32 v5, v6, v9, vcc
	v_lshlrev_b32_e32 v5, 2, v5
	ds_bpermute_b32 v9, v5, v8
	v_cmp_lt_i32_e32 vcc, v10, v7
	v_cndmask_b32_e32 v6, v6, v10, vcc
	v_lshlrev_b32_e32 v6, 2, v6
	v_and_b32_e32 v7, 31, v0
	s_waitcnt lgkmcnt(0)
	v_add_f32_e32 v8, v8, v9
	ds_bpermute_b32 v9, v6, v8
	v_cmp_eq_u32_e32 vcc, 0, v7
	s_and_saveexec_b64 s[20:21], vcc
	s_cbranch_execz .LBB6_6
; %bb.5:
	s_waitcnt lgkmcnt(0)
	v_add_f32_e32 v8, v8, v9
	v_lshrrev_b32_e32 v9, 3, v0
	v_add_u32_e32 v9, 0, v9
	ds_write_b32 v9, v8
.LBB6_6:
	s_or_b64 exec, exec, s[20:21]
	v_cmp_gt_u32_e32 vcc, 8, v7
	v_mov_b32_e32 v8, 0
	s_waitcnt lgkmcnt(0)
	s_barrier
	s_and_saveexec_b64 s[20:21], vcc
; %bb.7:
	v_lshl_add_u32 v7, v7, 2, 0
	ds_read_b32 v8, v7
; %bb.8:
	s_or_b64 exec, exec, s[20:21]
	s_waitcnt lgkmcnt(0)
	ds_bpermute_b32 v1, v1, v8
	s_waitcnt lgkmcnt(0)
	v_add_f32_e32 v1, v8, v1
	ds_bpermute_b32 v2, v2, v1
	s_waitcnt lgkmcnt(0)
	v_add_f32_e32 v1, v1, v2
	ds_bpermute_b32 v2, v4, v1
	s_waitcnt lgkmcnt(0)
	v_add_f32_e32 v1, v1, v2
	ds_bpermute_b32 v2, v5, v1
	s_waitcnt lgkmcnt(0)
	v_add_f32_e32 v1, v1, v2
	ds_bpermute_b32 v2, v6, v1
	s_and_saveexec_b64 s[20:21], s[0:1]
	s_cbranch_execz .LBB6_11
; %bb.9:
	v_cvt_f32_i32_e32 v4, s9
	s_waitcnt lgkmcnt(0)
	v_add_f32_e32 v1, v1, v2
	s_load_dword s3, s[4:5], 0x30
	s_load_dwordx8 s[20:27], s[4:5], 0x38
	s_mul_hi_u32 s4, s18, s7
	v_div_scale_f32 v2, s[0:1], v4, v4, v1
	v_div_scale_f32 v5, vcc, v1, v4, v1
	s_mul_hi_u32 s1, s15, s6
	s_mul_hi_u32 s11, s37, s8
	s_mul_i32 s0, s41, s8
	s_add_i32 s1, s6, s1
	s_add_i32 s4, s7, s4
	;; [unrolled: 1-line block ×4, first 2 shown]
	s_lshr_b32 s1, s1, s16
	s_lshr_b32 s4, s4, s19
	;; [unrolled: 1-line block ×3, first 2 shown]
	s_mul_i32 s0, s0, s40
	s_mul_i32 s1, s1, s17
	v_rcp_f32_e32 v6, v2
	s_mul_i32 s4, s4, s36
	s_mul_i32 s11, s11, s39
	s_add_i32 s0, s0, s6
	v_fma_f32 v7, -v2, v6, 1.0
	v_fmac_f32_e32 v6, v7, v6
	v_mul_f32_e32 v7, v5, v6
	v_fma_f32 v8, -v2, v7, v5
	v_fmac_f32_e32 v7, v8, v6
	v_fma_f32 v2, -v2, v7, v5
	v_div_fmas_f32 v2, v2, v6, v7
	s_sub_i32 s15, s6, s1
	s_sub_i32 s6, s7, s4
	;; [unrolled: 1-line block ×3, first 2 shown]
	s_mov_b32 s5, 0x800000
	s_waitcnt lgkmcnt(0)
	s_mul_i32 s7, s27, s4
	s_mul_hi_u32 s8, s26, s4
	s_mul_i32 s0, s0, s9
	s_mul_i32 s4, s26, s4
	;; [unrolled: 1-line block ×3, first 2 shown]
	s_mul_hi_u32 s16, s24, s6
	s_ashr_i32 s1, s0, 31
	s_mul_i32 s6, s24, s6
	v_div_fixup_f32 v1, v2, v4, v1
	v_add_f32_e32 v1, s3, v1
	v_cmp_gt_f32_e32 vcc, s5, v1
	s_mul_i32 s3, s23, s15
	s_add_i32 s5, s8, s7
	s_mul_hi_u32 s8, s22, s15
	s_add_i32 s7, s16, s11
	s_add_i32 s17, s8, s3
	s_lshl_b64 s[4:5], s[4:5], 2
	v_mul_f32_e32 v2, 0x4b800000, v1
	s_add_u32 s3, s20, s4
	v_cndmask_b32_e32 v1, v1, v2, vcc
	s_addc_u32 s8, s21, s5
	s_lshl_b64 s[4:5], s[6:7], 2
	v_rsq_f32_e32 v1, v1
	s_mul_i32 s16, s22, s15
	s_add_u32 s3, s3, s4
	s_addc_u32 s6, s8, s5
	s_lshl_b64 s[4:5], s[16:17], 2
	s_add_u32 s4, s3, s4
	s_addc_u32 s8, s6, s5
	s_lshl_b64 s[0:1], s[0:1], 2
	v_mul_f32_e32 v2, 0x45800000, v1
	s_add_u32 s0, s30, s0
	v_cndmask_b32_e32 v7, v1, v2, vcc
	s_addc_u32 s1, s31, s1
	v_add_co_u32_e32 v1, vcc, s0, v3
	s_add_i32 s0, s48, s45
	s_add_i32 s3, s46, s44
	;; [unrolled: 1-line block ×4, first 2 shown]
	v_mov_b32_e32 v2, s1
	s_lshl_b64 s[0:1], s[34:35], 2
	s_lshl_b64 s[10:11], s[10:11], 2
	s_add_u32 s5, s0, s10
	s_addc_u32 s10, s1, s11
	s_add_i32 s0, s42, s33
	s_add_i32 s3, s0, s43
	s_lshl_b64 s[0:1], s[2:3], 2
	s_add_u32 s0, s5, s0
	s_addc_u32 s1, s10, s1
	s_add_u32 s0, s28, s0
	v_addc_co_u32_e32 v2, vcc, 0, v2, vcc
	s_addc_u32 s1, s29, s1
	v_mov_b32_e32 v4, s1
	v_add_co_u32_e32 v3, vcc, s0, v3
	v_mad_u64_u32 v[5:6], s[0:1], v0, s12, 0
	s_mov_b32 s7, 0
	s_mov_b32 s6, s12
	v_addc_co_u32_e32 v4, vcc, 0, v4, vcc
	s_lshl_b64 s[0:1], s[6:7], 8
	s_sub_i32 s5, 0, s14
	s_mov_b64 s[2:3], 0
	v_mov_b32_e32 v8, s8
	s_movk_i32 s6, 0x400
.LBB6_10:                               ; =>This Inner Loop Header: Depth=1
	v_add_u32_e32 v9, v0, v6
	v_lshrrev_b32_e32 v9, s13, v9
	v_mad_u64_u32 v[9:10], s[10:11], s5, v9, v[0:1]
	global_load_dword v11, v[3:4], off
	v_add_u32_e32 v0, 0x100, v0
	v_ashrrev_i32_e32 v10, 31, v9
	v_lshlrev_b64 v[9:10], 2, v[9:10]
	v_add_co_u32_e32 v9, vcc, s4, v9
	v_addc_co_u32_e32 v10, vcc, v8, v10, vcc
	global_load_dword v9, v[9:10], off
	v_mov_b32_e32 v10, s1
	v_add_co_u32_e32 v5, vcc, s0, v5
	v_addc_co_u32_e32 v6, vcc, v6, v10, vcc
	v_cmp_le_i32_e32 vcc, s9, v0
	s_or_b64 s[2:3], vcc, s[2:3]
	s_waitcnt vmcnt(1)
	v_mul_f32_e32 v10, v7, v11
	s_waitcnt vmcnt(0)
	v_mul_f32_e32 v9, v10, v9
	global_store_dword v[1:2], v9, off
	v_add_co_u32_e32 v1, vcc, s6, v1
	v_addc_co_u32_e32 v2, vcc, 0, v2, vcc
	v_add_co_u32_e32 v3, vcc, 0x400, v3
	v_addc_co_u32_e32 v4, vcc, 0, v4, vcc
	s_andn2_b64 exec, exec, s[2:3]
	s_cbranch_execnz .LBB6_10
.LBB6_11:
	s_endpgm
	.section	.rodata,"a",@progbits
	.p2align	6, 0x0
	.amdhsa_kernel _ZL12rms_norm_f32ILi256ELb1ELb0EEvPKfPfilllfS1_lll15HIP_vector_typeIjLj3EES4_S4_S4_S1_lllS4_S4_S4_S4_
		.amdhsa_group_segment_fixed_size 0
		.amdhsa_private_segment_fixed_size 0
		.amdhsa_kernarg_size 472
		.amdhsa_user_sgpr_count 6
		.amdhsa_user_sgpr_private_segment_buffer 1
		.amdhsa_user_sgpr_dispatch_ptr 0
		.amdhsa_user_sgpr_queue_ptr 0
		.amdhsa_user_sgpr_kernarg_segment_ptr 1
		.amdhsa_user_sgpr_dispatch_id 0
		.amdhsa_user_sgpr_flat_scratch_init 0
		.amdhsa_user_sgpr_private_segment_size 0
		.amdhsa_uses_dynamic_stack 0
		.amdhsa_system_sgpr_private_segment_wavefront_offset 0
		.amdhsa_system_sgpr_workgroup_id_x 1
		.amdhsa_system_sgpr_workgroup_id_y 1
		.amdhsa_system_sgpr_workgroup_id_z 1
		.amdhsa_system_sgpr_workgroup_info 0
		.amdhsa_system_vgpr_workitem_id 0
		.amdhsa_next_free_vgpr 12
		.amdhsa_next_free_sgpr 50
		.amdhsa_reserve_vcc 1
		.amdhsa_reserve_flat_scratch 0
		.amdhsa_float_round_mode_32 0
		.amdhsa_float_round_mode_16_64 0
		.amdhsa_float_denorm_mode_32 3
		.amdhsa_float_denorm_mode_16_64 3
		.amdhsa_dx10_clamp 1
		.amdhsa_ieee_mode 1
		.amdhsa_fp16_overflow 0
		.amdhsa_exception_fp_ieee_invalid_op 0
		.amdhsa_exception_fp_denorm_src 0
		.amdhsa_exception_fp_ieee_div_zero 0
		.amdhsa_exception_fp_ieee_overflow 0
		.amdhsa_exception_fp_ieee_underflow 0
		.amdhsa_exception_fp_ieee_inexact 0
		.amdhsa_exception_int_div_zero 0
	.end_amdhsa_kernel
	.section	.text._ZL12rms_norm_f32ILi256ELb1ELb0EEvPKfPfilllfS1_lll15HIP_vector_typeIjLj3EES4_S4_S4_S1_lllS4_S4_S4_S4_,"axG",@progbits,_ZL12rms_norm_f32ILi256ELb1ELb0EEvPKfPfilllfS1_lll15HIP_vector_typeIjLj3EES4_S4_S4_S1_lllS4_S4_S4_S4_,comdat
.Lfunc_end6:
	.size	_ZL12rms_norm_f32ILi256ELb1ELb0EEvPKfPfilllfS1_lll15HIP_vector_typeIjLj3EES4_S4_S4_S1_lllS4_S4_S4_S4_, .Lfunc_end6-_ZL12rms_norm_f32ILi256ELb1ELb0EEvPKfPfilllfS1_lll15HIP_vector_typeIjLj3EES4_S4_S4_S1_lllS4_S4_S4_S4_
                                        ; -- End function
	.set _ZL12rms_norm_f32ILi256ELb1ELb0EEvPKfPfilllfS1_lll15HIP_vector_typeIjLj3EES4_S4_S4_S1_lllS4_S4_S4_S4_.num_vgpr, 12
	.set _ZL12rms_norm_f32ILi256ELb1ELb0EEvPKfPfilllfS1_lll15HIP_vector_typeIjLj3EES4_S4_S4_S1_lllS4_S4_S4_S4_.num_agpr, 0
	.set _ZL12rms_norm_f32ILi256ELb1ELb0EEvPKfPfilllfS1_lll15HIP_vector_typeIjLj3EES4_S4_S4_S1_lllS4_S4_S4_S4_.numbered_sgpr, 50
	.set _ZL12rms_norm_f32ILi256ELb1ELb0EEvPKfPfilllfS1_lll15HIP_vector_typeIjLj3EES4_S4_S4_S1_lllS4_S4_S4_S4_.num_named_barrier, 0
	.set _ZL12rms_norm_f32ILi256ELb1ELb0EEvPKfPfilllfS1_lll15HIP_vector_typeIjLj3EES4_S4_S4_S1_lllS4_S4_S4_S4_.private_seg_size, 0
	.set _ZL12rms_norm_f32ILi256ELb1ELb0EEvPKfPfilllfS1_lll15HIP_vector_typeIjLj3EES4_S4_S4_S1_lllS4_S4_S4_S4_.uses_vcc, 1
	.set _ZL12rms_norm_f32ILi256ELb1ELb0EEvPKfPfilllfS1_lll15HIP_vector_typeIjLj3EES4_S4_S4_S1_lllS4_S4_S4_S4_.uses_flat_scratch, 0
	.set _ZL12rms_norm_f32ILi256ELb1ELb0EEvPKfPfilllfS1_lll15HIP_vector_typeIjLj3EES4_S4_S4_S1_lllS4_S4_S4_S4_.has_dyn_sized_stack, 0
	.set _ZL12rms_norm_f32ILi256ELb1ELb0EEvPKfPfilllfS1_lll15HIP_vector_typeIjLj3EES4_S4_S4_S1_lllS4_S4_S4_S4_.has_recursion, 0
	.set _ZL12rms_norm_f32ILi256ELb1ELb0EEvPKfPfilllfS1_lll15HIP_vector_typeIjLj3EES4_S4_S4_S1_lllS4_S4_S4_S4_.has_indirect_call, 0
	.section	.AMDGPU.csdata,"",@progbits
; Kernel info:
; codeLenInByte = 1220
; TotalNumSgprs: 54
; NumVgprs: 12
; ScratchSize: 0
; MemoryBound: 0
; FloatMode: 240
; IeeeMode: 1
; LDSByteSize: 0 bytes/workgroup (compile time only)
; SGPRBlocks: 6
; VGPRBlocks: 2
; NumSGPRsForWavesPerEU: 54
; NumVGPRsForWavesPerEU: 12
; Occupancy: 10
; WaveLimiterHint : 0
; COMPUTE_PGM_RSRC2:SCRATCH_EN: 0
; COMPUTE_PGM_RSRC2:USER_SGPR: 6
; COMPUTE_PGM_RSRC2:TRAP_HANDLER: 0
; COMPUTE_PGM_RSRC2:TGID_X_EN: 1
; COMPUTE_PGM_RSRC2:TGID_Y_EN: 1
; COMPUTE_PGM_RSRC2:TGID_Z_EN: 1
; COMPUTE_PGM_RSRC2:TIDIG_COMP_CNT: 0
	.section	.text._ZL12rms_norm_f32ILi1024ELb1ELb0EEvPKfPfilllfS1_lll15HIP_vector_typeIjLj3EES4_S4_S4_S1_lllS4_S4_S4_S4_,"axG",@progbits,_ZL12rms_norm_f32ILi1024ELb1ELb0EEvPKfPfilllfS1_lll15HIP_vector_typeIjLj3EES4_S4_S4_S1_lllS4_S4_S4_S4_,comdat
	.globl	_ZL12rms_norm_f32ILi1024ELb1ELb0EEvPKfPfilllfS1_lll15HIP_vector_typeIjLj3EES4_S4_S4_S1_lllS4_S4_S4_S4_ ; -- Begin function _ZL12rms_norm_f32ILi1024ELb1ELb0EEvPKfPfilllfS1_lll15HIP_vector_typeIjLj3EES4_S4_S4_S1_lllS4_S4_S4_S4_
	.p2align	8
	.type	_ZL12rms_norm_f32ILi1024ELb1ELb0EEvPKfPfilllfS1_lll15HIP_vector_typeIjLj3EES4_S4_S4_S1_lllS4_S4_S4_S4_,@function
_ZL12rms_norm_f32ILi1024ELb1ELb0EEvPKfPfilllfS1_lll15HIP_vector_typeIjLj3EES4_S4_S4_S1_lllS4_S4_S4_S4_: ; @_ZL12rms_norm_f32ILi1024ELb1ELb0EEvPKfPfilllfS1_lll15HIP_vector_typeIjLj3EES4_S4_S4_S1_lllS4_S4_S4_S4_
; %bb.0:
	s_load_dwordx4 s[28:31], s[4:5], 0x0
	s_load_dword s33, s[4:5], 0x10
	s_load_dwordx4 s[20:23], s[4:5], 0x18
	s_load_dwordx2 s[2:3], s[4:5], 0x28
	s_load_dwordx8 s[12:19], s[4:5], 0x58
	s_load_dwordx4 s[36:39], s[4:5], 0x78
	s_load_dwordx2 s[40:41], s[4:5], 0xd8
	s_ashr_i32 s9, s8, 31
	s_ashr_i32 s10, s7, 31
	;; [unrolled: 1-line block ×3, first 2 shown]
	s_waitcnt lgkmcnt(0)
	v_cmp_gt_i32_e64 s[0:1], s33, v0
	v_mov_b32_e32 v4, 0
	s_mul_i32 s46, s2, s9
	s_mul_hi_u32 s49, s2, s8
	s_mul_i32 s50, s3, s8
	s_mul_i32 s34, s2, s8
	s_mul_i32 s45, s22, s10
	s_mul_hi_u32 s47, s22, s7
	s_mul_i32 s48, s23, s7
	s_mul_i32 s10, s22, s7
	;; [unrolled: 4-line block ×3, first 2 shown]
	v_lshlrev_b32_e32 v3, 2, v0
	s_and_saveexec_b64 s[20:21], s[0:1]
	s_cbranch_execz .LBB7_4
; %bb.1:
	s_add_i32 s3, s49, s46
	s_add_i32 s35, s3, s50
	;; [unrolled: 1-line block ×4, first 2 shown]
	s_lshl_b64 s[22:23], s[34:35], 2
	s_lshl_b64 s[24:25], s[10:11], 2
	s_add_u32 s9, s22, s24
	s_addc_u32 s11, s23, s25
	s_add_i32 s3, s43, s42
	s_add_i32 s3, s3, s44
	s_lshl_b64 s[22:23], s[2:3], 2
	s_add_u32 s3, s9, s22
	s_addc_u32 s9, s11, s23
	s_add_u32 s3, s28, s3
	s_addc_u32 s9, s29, s9
	v_mov_b32_e32 v2, s9
	v_add_co_u32_e32 v1, vcc, s3, v3
	v_mov_b32_e32 v4, 0
	v_addc_co_u32_e32 v2, vcc, 0, v2, vcc
	s_mov_b64 s[22:23], 0
	v_mov_b32_e32 v5, v0
.LBB7_2:                                ; =>This Inner Loop Header: Depth=1
	global_load_dword v6, v[1:2], off
	v_add_co_u32_e32 v1, vcc, 0x1000, v1
	v_add_u32_e32 v5, 0x400, v5
	v_addc_co_u32_e32 v2, vcc, 0, v2, vcc
	v_cmp_le_i32_e32 vcc, s33, v5
	s_or_b64 s[22:23], vcc, s[22:23]
	s_waitcnt vmcnt(0)
	v_fmac_f32_e32 v4, v6, v6
	s_andn2_b64 exec, exec, s[22:23]
	s_cbranch_execnz .LBB7_2
; %bb.3:
	s_or_b64 exec, exec, s[22:23]
.LBB7_4:
	s_or_b64 exec, exec, s[20:21]
	v_mbcnt_lo_u32_b32 v1, -1, 0
	v_mbcnt_hi_u32_b32 v6, -1, v1
	v_and_b32_e32 v1, 0x60, v6
	v_add_u32_e32 v7, 32, v1
	v_xor_b32_e32 v1, 16, v6
	v_cmp_lt_i32_e32 vcc, v1, v7
	v_cndmask_b32_e32 v1, v6, v1, vcc
	v_lshlrev_b32_e32 v1, 2, v1
	ds_bpermute_b32 v2, v1, v4
	v_xor_b32_e32 v5, 8, v6
	v_cmp_lt_i32_e32 vcc, v5, v7
	v_xor_b32_e32 v8, 4, v6
	v_xor_b32_e32 v9, 2, v6
	s_waitcnt lgkmcnt(0)
	v_add_f32_e32 v4, v4, v2
	v_cndmask_b32_e32 v2, v6, v5, vcc
	v_lshlrev_b32_e32 v2, 2, v2
	ds_bpermute_b32 v5, v2, v4
	v_cmp_lt_i32_e32 vcc, v8, v7
	v_xor_b32_e32 v10, 1, v6
	s_waitcnt lgkmcnt(0)
	v_add_f32_e32 v5, v4, v5
	v_cndmask_b32_e32 v4, v6, v8, vcc
	v_lshlrev_b32_e32 v4, 2, v4
	ds_bpermute_b32 v8, v4, v5
	v_cmp_lt_i32_e32 vcc, v9, v7
	s_waitcnt lgkmcnt(0)
	v_add_f32_e32 v8, v5, v8
	v_cndmask_b32_e32 v5, v6, v9, vcc
	v_lshlrev_b32_e32 v5, 2, v5
	ds_bpermute_b32 v9, v5, v8
	v_cmp_lt_i32_e32 vcc, v10, v7
	v_cndmask_b32_e32 v6, v6, v10, vcc
	v_lshlrev_b32_e32 v6, 2, v6
	v_and_b32_e32 v7, 31, v0
	s_waitcnt lgkmcnt(0)
	v_add_f32_e32 v8, v8, v9
	ds_bpermute_b32 v9, v6, v8
	v_cmp_eq_u32_e32 vcc, 0, v7
	s_and_saveexec_b64 s[20:21], vcc
	s_cbranch_execz .LBB7_6
; %bb.5:
	s_waitcnt lgkmcnt(0)
	v_add_f32_e32 v8, v8, v9
	v_lshrrev_b32_e32 v9, 3, v0
	v_add_u32_e32 v9, 0, v9
	ds_write_b32 v9, v8
.LBB7_6:
	s_or_b64 exec, exec, s[20:21]
	v_lshl_add_u32 v7, v7, 2, 0
	s_waitcnt lgkmcnt(0)
	s_barrier
	ds_read_b32 v7, v7
	s_mov_b32 s9, 0
	s_waitcnt lgkmcnt(0)
	ds_bpermute_b32 v1, v1, v7
	s_waitcnt lgkmcnt(0)
	v_add_f32_e32 v1, v7, v1
	ds_bpermute_b32 v2, v2, v1
	s_waitcnt lgkmcnt(0)
	v_add_f32_e32 v1, v1, v2
	ds_bpermute_b32 v2, v4, v1
	s_waitcnt lgkmcnt(0)
	v_add_f32_e32 v1, v1, v2
	ds_bpermute_b32 v2, v5, v1
	s_waitcnt lgkmcnt(0)
	v_add_f32_e32 v1, v1, v2
	ds_bpermute_b32 v2, v6, v1
	s_and_saveexec_b64 s[20:21], s[0:1]
	s_cbranch_execz .LBB7_9
; %bb.7:
	v_cvt_f32_i32_e32 v4, s33
	s_waitcnt lgkmcnt(0)
	v_add_f32_e32 v1, v1, v2
	s_load_dword s3, s[4:5], 0x30
	s_load_dwordx8 s[20:27], s[4:5], 0x38
	s_mul_hi_u32 s4, s18, s7
	v_div_scale_f32 v2, s[0:1], v4, v4, v1
	v_div_scale_f32 v5, vcc, v1, v4, v1
	s_mul_hi_u32 s1, s15, s6
	s_mul_hi_u32 s11, s37, s8
	s_mul_i32 s0, s41, s8
	s_add_i32 s1, s6, s1
	s_add_i32 s4, s7, s4
	;; [unrolled: 1-line block ×4, first 2 shown]
	s_lshr_b32 s1, s1, s16
	s_lshr_b32 s4, s4, s19
	;; [unrolled: 1-line block ×3, first 2 shown]
	s_mul_i32 s0, s0, s40
	s_mul_i32 s1, s1, s17
	v_rcp_f32_e32 v6, v2
	s_mul_i32 s4, s4, s36
	s_mul_i32 s11, s11, s39
	s_add_i32 s0, s0, s6
	v_fma_f32 v7, -v2, v6, 1.0
	v_fmac_f32_e32 v6, v7, v6
	v_mul_f32_e32 v7, v5, v6
	v_fma_f32 v8, -v2, v7, v5
	v_fmac_f32_e32 v7, v8, v6
	v_fma_f32 v2, -v2, v7, v5
	v_div_fmas_f32 v2, v2, v6, v7
	s_sub_i32 s15, s6, s1
	s_sub_i32 s6, s7, s4
	;; [unrolled: 1-line block ×3, first 2 shown]
	s_mov_b32 s5, 0x800000
	s_waitcnt lgkmcnt(0)
	s_mul_i32 s7, s27, s4
	s_mul_hi_u32 s8, s26, s4
	s_mul_i32 s0, s0, s33
	s_mul_i32 s4, s26, s4
	;; [unrolled: 1-line block ×3, first 2 shown]
	s_mul_hi_u32 s16, s24, s6
	s_ashr_i32 s1, s0, 31
	s_mul_i32 s6, s24, s6
	v_div_fixup_f32 v1, v2, v4, v1
	v_add_f32_e32 v1, s3, v1
	v_cmp_gt_f32_e32 vcc, s5, v1
	s_mul_i32 s3, s23, s15
	s_add_i32 s5, s8, s7
	s_mul_hi_u32 s8, s22, s15
	s_add_i32 s7, s16, s11
	s_add_i32 s17, s8, s3
	s_lshl_b64 s[4:5], s[4:5], 2
	v_mul_f32_e32 v2, 0x4b800000, v1
	s_add_u32 s3, s20, s4
	v_cndmask_b32_e32 v1, v1, v2, vcc
	s_addc_u32 s8, s21, s5
	s_lshl_b64 s[4:5], s[6:7], 2
	v_rsq_f32_e32 v1, v1
	s_mul_i32 s16, s22, s15
	s_add_u32 s3, s3, s4
	s_addc_u32 s6, s8, s5
	s_lshl_b64 s[4:5], s[16:17], 2
	s_add_u32 s4, s3, s4
	s_addc_u32 s5, s6, s5
	s_lshl_b64 s[0:1], s[0:1], 2
	v_mul_f32_e32 v2, 0x45800000, v1
	s_add_u32 s0, s30, s0
	v_cndmask_b32_e32 v7, v1, v2, vcc
	s_addc_u32 s1, s31, s1
	v_add_co_u32_e32 v1, vcc, s0, v3
	s_add_i32 s0, s49, s46
	s_add_i32 s3, s47, s45
	;; [unrolled: 1-line block ×4, first 2 shown]
	v_mov_b32_e32 v2, s1
	s_lshl_b64 s[0:1], s[34:35], 2
	s_lshl_b64 s[6:7], s[10:11], 2
	s_add_u32 s6, s0, s6
	s_addc_u32 s7, s1, s7
	s_add_i32 s0, s43, s42
	s_add_i32 s3, s0, s44
	s_lshl_b64 s[0:1], s[2:3], 2
	s_add_u32 s0, s6, s0
	s_addc_u32 s1, s7, s1
	s_add_u32 s0, s28, s0
	v_addc_co_u32_e32 v2, vcc, 0, v2, vcc
	s_addc_u32 s1, s29, s1
	v_mov_b32_e32 v4, s1
	v_add_co_u32_e32 v3, vcc, s0, v3
	v_mad_u64_u32 v[5:6], s[0:1], v0, s12, 0
	s_mov_b32 s8, s12
	v_addc_co_u32_e32 v4, vcc, 0, v4, vcc
	s_lshl_b64 s[0:1], s[8:9], 10
	s_sub_i32 s6, 0, s14
	s_mov_b64 s[2:3], 0
	s_movk_i32 s7, 0x1000
.LBB7_8:                                ; =>This Inner Loop Header: Depth=1
	v_add_u32_e32 v8, v0, v6
	v_lshrrev_b32_e32 v8, s13, v8
	v_mad_u64_u32 v[8:9], s[8:9], s6, v8, v[0:1]
	v_mov_b32_e32 v11, s5
	global_load_dword v10, v[3:4], off
	v_ashrrev_i32_e32 v9, 31, v8
	v_lshlrev_b64 v[8:9], 2, v[8:9]
	v_add_u32_e32 v0, 0x400, v0
	v_add_co_u32_e32 v8, vcc, s4, v8
	v_addc_co_u32_e32 v9, vcc, v11, v9, vcc
	global_load_dword v8, v[8:9], off
	v_mov_b32_e32 v9, s1
	v_add_co_u32_e32 v5, vcc, s0, v5
	v_addc_co_u32_e32 v6, vcc, v6, v9, vcc
	v_cmp_le_i32_e32 vcc, s33, v0
	s_or_b64 s[2:3], vcc, s[2:3]
	s_waitcnt vmcnt(1)
	v_mul_f32_e32 v9, v7, v10
	s_waitcnt vmcnt(0)
	v_mul_f32_e32 v8, v9, v8
	global_store_dword v[1:2], v8, off
	v_add_co_u32_e32 v1, vcc, s7, v1
	v_addc_co_u32_e32 v2, vcc, 0, v2, vcc
	v_add_co_u32_e32 v3, vcc, 0x1000, v3
	v_addc_co_u32_e32 v4, vcc, 0, v4, vcc
	s_andn2_b64 exec, exec, s[2:3]
	s_cbranch_execnz .LBB7_8
.LBB7_9:
	s_endpgm
	.section	.rodata,"a",@progbits
	.p2align	6, 0x0
	.amdhsa_kernel _ZL12rms_norm_f32ILi1024ELb1ELb0EEvPKfPfilllfS1_lll15HIP_vector_typeIjLj3EES4_S4_S4_S1_lllS4_S4_S4_S4_
		.amdhsa_group_segment_fixed_size 0
		.amdhsa_private_segment_fixed_size 0
		.amdhsa_kernarg_size 472
		.amdhsa_user_sgpr_count 6
		.amdhsa_user_sgpr_private_segment_buffer 1
		.amdhsa_user_sgpr_dispatch_ptr 0
		.amdhsa_user_sgpr_queue_ptr 0
		.amdhsa_user_sgpr_kernarg_segment_ptr 1
		.amdhsa_user_sgpr_dispatch_id 0
		.amdhsa_user_sgpr_flat_scratch_init 0
		.amdhsa_user_sgpr_private_segment_size 0
		.amdhsa_uses_dynamic_stack 0
		.amdhsa_system_sgpr_private_segment_wavefront_offset 0
		.amdhsa_system_sgpr_workgroup_id_x 1
		.amdhsa_system_sgpr_workgroup_id_y 1
		.amdhsa_system_sgpr_workgroup_id_z 1
		.amdhsa_system_sgpr_workgroup_info 0
		.amdhsa_system_vgpr_workitem_id 0
		.amdhsa_next_free_vgpr 12
		.amdhsa_next_free_sgpr 51
		.amdhsa_reserve_vcc 1
		.amdhsa_reserve_flat_scratch 0
		.amdhsa_float_round_mode_32 0
		.amdhsa_float_round_mode_16_64 0
		.amdhsa_float_denorm_mode_32 3
		.amdhsa_float_denorm_mode_16_64 3
		.amdhsa_dx10_clamp 1
		.amdhsa_ieee_mode 1
		.amdhsa_fp16_overflow 0
		.amdhsa_exception_fp_ieee_invalid_op 0
		.amdhsa_exception_fp_denorm_src 0
		.amdhsa_exception_fp_ieee_div_zero 0
		.amdhsa_exception_fp_ieee_overflow 0
		.amdhsa_exception_fp_ieee_underflow 0
		.amdhsa_exception_fp_ieee_inexact 0
		.amdhsa_exception_int_div_zero 0
	.end_amdhsa_kernel
	.section	.text._ZL12rms_norm_f32ILi1024ELb1ELb0EEvPKfPfilllfS1_lll15HIP_vector_typeIjLj3EES4_S4_S4_S1_lllS4_S4_S4_S4_,"axG",@progbits,_ZL12rms_norm_f32ILi1024ELb1ELb0EEvPKfPfilllfS1_lll15HIP_vector_typeIjLj3EES4_S4_S4_S1_lllS4_S4_S4_S4_,comdat
.Lfunc_end7:
	.size	_ZL12rms_norm_f32ILi1024ELb1ELb0EEvPKfPfilllfS1_lll15HIP_vector_typeIjLj3EES4_S4_S4_S1_lllS4_S4_S4_S4_, .Lfunc_end7-_ZL12rms_norm_f32ILi1024ELb1ELb0EEvPKfPfilllfS1_lll15HIP_vector_typeIjLj3EES4_S4_S4_S1_lllS4_S4_S4_S4_
                                        ; -- End function
	.set _ZL12rms_norm_f32ILi1024ELb1ELb0EEvPKfPfilllfS1_lll15HIP_vector_typeIjLj3EES4_S4_S4_S1_lllS4_S4_S4_S4_.num_vgpr, 12
	.set _ZL12rms_norm_f32ILi1024ELb1ELb0EEvPKfPfilllfS1_lll15HIP_vector_typeIjLj3EES4_S4_S4_S1_lllS4_S4_S4_S4_.num_agpr, 0
	.set _ZL12rms_norm_f32ILi1024ELb1ELb0EEvPKfPfilllfS1_lll15HIP_vector_typeIjLj3EES4_S4_S4_S1_lllS4_S4_S4_S4_.numbered_sgpr, 51
	.set _ZL12rms_norm_f32ILi1024ELb1ELb0EEvPKfPfilllfS1_lll15HIP_vector_typeIjLj3EES4_S4_S4_S1_lllS4_S4_S4_S4_.num_named_barrier, 0
	.set _ZL12rms_norm_f32ILi1024ELb1ELb0EEvPKfPfilllfS1_lll15HIP_vector_typeIjLj3EES4_S4_S4_S1_lllS4_S4_S4_S4_.private_seg_size, 0
	.set _ZL12rms_norm_f32ILi1024ELb1ELb0EEvPKfPfilllfS1_lll15HIP_vector_typeIjLj3EES4_S4_S4_S1_lllS4_S4_S4_S4_.uses_vcc, 1
	.set _ZL12rms_norm_f32ILi1024ELb1ELb0EEvPKfPfilllfS1_lll15HIP_vector_typeIjLj3EES4_S4_S4_S1_lllS4_S4_S4_S4_.uses_flat_scratch, 0
	.set _ZL12rms_norm_f32ILi1024ELb1ELb0EEvPKfPfilllfS1_lll15HIP_vector_typeIjLj3EES4_S4_S4_S1_lllS4_S4_S4_S4_.has_dyn_sized_stack, 0
	.set _ZL12rms_norm_f32ILi1024ELb1ELb0EEvPKfPfilllfS1_lll15HIP_vector_typeIjLj3EES4_S4_S4_S1_lllS4_S4_S4_S4_.has_recursion, 0
	.set _ZL12rms_norm_f32ILi1024ELb1ELb0EEvPKfPfilllfS1_lll15HIP_vector_typeIjLj3EES4_S4_S4_S1_lllS4_S4_S4_S4_.has_indirect_call, 0
	.section	.AMDGPU.csdata,"",@progbits
; Kernel info:
; codeLenInByte = 1204
; TotalNumSgprs: 55
; NumVgprs: 12
; ScratchSize: 0
; MemoryBound: 0
; FloatMode: 240
; IeeeMode: 1
; LDSByteSize: 0 bytes/workgroup (compile time only)
; SGPRBlocks: 6
; VGPRBlocks: 2
; NumSGPRsForWavesPerEU: 55
; NumVGPRsForWavesPerEU: 12
; Occupancy: 10
; WaveLimiterHint : 0
; COMPUTE_PGM_RSRC2:SCRATCH_EN: 0
; COMPUTE_PGM_RSRC2:USER_SGPR: 6
; COMPUTE_PGM_RSRC2:TRAP_HANDLER: 0
; COMPUTE_PGM_RSRC2:TGID_X_EN: 1
; COMPUTE_PGM_RSRC2:TGID_Y_EN: 1
; COMPUTE_PGM_RSRC2:TGID_Z_EN: 1
; COMPUTE_PGM_RSRC2:TIDIG_COMP_CNT: 0
	.section	.text._ZL12rms_norm_f32ILi256ELb1ELb1EEvPKfPfilllfS1_lll15HIP_vector_typeIjLj3EES4_S4_S4_S1_lllS4_S4_S4_S4_,"axG",@progbits,_ZL12rms_norm_f32ILi256ELb1ELb1EEvPKfPfilllfS1_lll15HIP_vector_typeIjLj3EES4_S4_S4_S1_lllS4_S4_S4_S4_,comdat
	.globl	_ZL12rms_norm_f32ILi256ELb1ELb1EEvPKfPfilllfS1_lll15HIP_vector_typeIjLj3EES4_S4_S4_S1_lllS4_S4_S4_S4_ ; -- Begin function _ZL12rms_norm_f32ILi256ELb1ELb1EEvPKfPfilllfS1_lll15HIP_vector_typeIjLj3EES4_S4_S4_S1_lllS4_S4_S4_S4_
	.p2align	8
	.type	_ZL12rms_norm_f32ILi256ELb1ELb1EEvPKfPfilllfS1_lll15HIP_vector_typeIjLj3EES4_S4_S4_S1_lllS4_S4_S4_S4_,@function
_ZL12rms_norm_f32ILi256ELb1ELb1EEvPKfPfilllfS1_lll15HIP_vector_typeIjLj3EES4_S4_S4_S1_lllS4_S4_S4_S4_: ; @_ZL12rms_norm_f32ILi256ELb1ELb1EEvPKfPfilllfS1_lll15HIP_vector_typeIjLj3EES4_S4_S4_S1_lllS4_S4_S4_S4_
; %bb.0:
	s_load_dwordx4 s[28:31], s[4:5], 0x0
	s_load_dword s33, s[4:5], 0x10
	s_load_dwordx4 s[36:39], s[4:5], 0x18
	s_load_dwordx2 s[2:3], s[4:5], 0x28
	s_load_dwordx4 s[48:51], s[4:5], 0x78
	s_load_dwordx8 s[12:19], s[4:5], 0x58
	s_load_dwordx8 s[20:27], s[4:5], 0xa8
	s_load_dwordx4 s[44:47], s[4:5], 0xc8
	s_load_dwordx2 s[52:53], s[4:5], 0xd8
	s_ashr_i32 s9, s8, 31
	s_ashr_i32 s10, s7, 31
	;; [unrolled: 1-line block ×3, first 2 shown]
	s_waitcnt lgkmcnt(0)
	v_cmp_gt_i32_e64 s[0:1], s33, v0
	v_mov_b32_e32 v4, 0
	s_mul_i32 s57, s2, s9
	s_mul_hi_u32 s60, s2, s8
	s_mul_i32 s61, s3, s8
	s_mul_i32 s34, s2, s8
	s_mul_i32 s56, s38, s10
	s_mul_hi_u32 s58, s38, s7
	s_mul_i32 s59, s39, s7
	s_mul_i32 s10, s38, s7
	;; [unrolled: 4-line block ×3, first 2 shown]
	v_lshlrev_b32_e32 v3, 2, v0
	s_and_saveexec_b64 s[36:37], s[0:1]
	s_cbranch_execz .LBB8_4
; %bb.1:
	s_add_i32 s3, s60, s57
	s_add_i32 s35, s3, s61
	s_add_i32 s3, s58, s56
	s_add_i32 s11, s3, s59
	s_lshl_b64 s[38:39], s[34:35], 2
	s_lshl_b64 s[40:41], s[10:11], 2
	s_add_u32 s11, s38, s40
	s_addc_u32 s35, s39, s41
	s_add_i32 s3, s54, s9
	s_add_i32 s3, s3, s55
	s_lshl_b64 s[38:39], s[2:3], 2
	s_add_u32 s3, s11, s38
	s_addc_u32 s11, s35, s39
	s_add_u32 s3, s28, s3
	s_addc_u32 s11, s29, s11
	v_mov_b32_e32 v2, s11
	v_add_co_u32_e32 v1, vcc, s3, v3
	v_mov_b32_e32 v4, 0
	v_addc_co_u32_e32 v2, vcc, 0, v2, vcc
	s_mov_b64 s[38:39], 0
	v_mov_b32_e32 v5, v0
.LBB8_2:                                ; =>This Inner Loop Header: Depth=1
	global_load_dword v6, v[1:2], off
	v_add_co_u32_e32 v1, vcc, 0x400, v1
	v_add_u32_e32 v5, 0x100, v5
	v_addc_co_u32_e32 v2, vcc, 0, v2, vcc
	v_cmp_le_i32_e32 vcc, s33, v5
	s_or_b64 s[38:39], vcc, s[38:39]
	s_waitcnt vmcnt(0)
	v_fmac_f32_e32 v4, v6, v6
	s_andn2_b64 exec, exec, s[38:39]
	s_cbranch_execnz .LBB8_2
; %bb.3:
	s_or_b64 exec, exec, s[38:39]
.LBB8_4:
	s_or_b64 exec, exec, s[36:37]
	v_mbcnt_lo_u32_b32 v1, -1, 0
	v_mbcnt_hi_u32_b32 v6, -1, v1
	v_and_b32_e32 v1, 0x60, v6
	v_add_u32_e32 v7, 32, v1
	v_xor_b32_e32 v1, 16, v6
	v_cmp_lt_i32_e32 vcc, v1, v7
	v_cndmask_b32_e32 v1, v6, v1, vcc
	v_lshlrev_b32_e32 v1, 2, v1
	ds_bpermute_b32 v2, v1, v4
	v_xor_b32_e32 v5, 8, v6
	v_cmp_lt_i32_e32 vcc, v5, v7
	v_xor_b32_e32 v8, 4, v6
	v_xor_b32_e32 v9, 2, v6
	s_waitcnt lgkmcnt(0)
	v_add_f32_e32 v4, v4, v2
	v_cndmask_b32_e32 v2, v6, v5, vcc
	v_lshlrev_b32_e32 v2, 2, v2
	ds_bpermute_b32 v5, v2, v4
	v_cmp_lt_i32_e32 vcc, v8, v7
	v_xor_b32_e32 v10, 1, v6
	s_waitcnt lgkmcnt(0)
	v_add_f32_e32 v5, v4, v5
	v_cndmask_b32_e32 v4, v6, v8, vcc
	v_lshlrev_b32_e32 v4, 2, v4
	ds_bpermute_b32 v8, v4, v5
	v_cmp_lt_i32_e32 vcc, v9, v7
	s_waitcnt lgkmcnt(0)
	v_add_f32_e32 v8, v5, v8
	v_cndmask_b32_e32 v5, v6, v9, vcc
	v_lshlrev_b32_e32 v5, 2, v5
	ds_bpermute_b32 v9, v5, v8
	v_cmp_lt_i32_e32 vcc, v10, v7
	v_cndmask_b32_e32 v6, v6, v10, vcc
	v_lshlrev_b32_e32 v6, 2, v6
	v_and_b32_e32 v7, 31, v0
	s_waitcnt lgkmcnt(0)
	v_add_f32_e32 v8, v8, v9
	ds_bpermute_b32 v9, v6, v8
	v_cmp_eq_u32_e32 vcc, 0, v7
	s_and_saveexec_b64 s[36:37], vcc
	s_cbranch_execz .LBB8_6
; %bb.5:
	s_waitcnt lgkmcnt(0)
	v_add_f32_e32 v8, v8, v9
	v_lshrrev_b32_e32 v9, 3, v0
	v_add_u32_e32 v9, 0, v9
	ds_write_b32 v9, v8
.LBB8_6:
	s_or_b64 exec, exec, s[36:37]
	v_cmp_gt_u32_e32 vcc, 8, v7
	v_mov_b32_e32 v8, 0
	s_waitcnt lgkmcnt(0)
	s_barrier
	s_and_saveexec_b64 s[36:37], vcc
; %bb.7:
	v_lshl_add_u32 v7, v7, 2, 0
	ds_read_b32 v8, v7
; %bb.8:
	s_or_b64 exec, exec, s[36:37]
	s_waitcnt lgkmcnt(0)
	ds_bpermute_b32 v1, v1, v8
	s_waitcnt lgkmcnt(0)
	v_add_f32_e32 v1, v8, v1
	ds_bpermute_b32 v2, v2, v1
	s_waitcnt lgkmcnt(0)
	v_add_f32_e32 v1, v1, v2
	;; [unrolled: 3-line block ×4, first 2 shown]
	ds_bpermute_b32 v2, v6, v1
	s_and_saveexec_b64 s[36:37], s[0:1]
	s_cbranch_execz .LBB8_11
; %bb.9:
	s_mul_i32 s0, s53, s8
	s_add_i32 s0, s0, s7
	s_load_dwordx8 s[36:43], s[4:5], 0x38
	s_mul_i32 s3, s0, s52
	s_mul_hi_u32 s0, s18, s7
	s_mul_hi_u32 s1, s49, s8
	s_add_i32 s0, s7, s0
	s_add_i32 s1, s8, s1
	s_lshr_b32 s0, s0, s19
	s_lshr_b32 s1, s1, s50
	s_mul_hi_u32 s11, s15, s6
	s_mul_i32 s0, s0, s48
	s_mul_i32 s1, s1, s51
	s_add_i32 s11, s6, s11
	s_lshr_b32 s11, s11, s16
	s_sub_i32 s15, s7, s0
	s_sub_i32 s0, s8, s1
	s_mul_i32 s11, s11, s17
	s_waitcnt lgkmcnt(0)
	s_mul_i32 s1, s43, s0
	s_mul_hi_u32 s16, s42, s0
	s_sub_i32 s11, s6, s11
	s_add_i32 s1, s16, s1
	s_mul_i32 s16, s41, s15
	s_mul_hi_u32 s17, s40, s15
	s_add_i32 s3, s3, s6
	v_cvt_f32_i32_e32 v4, s33
	s_mul_i32 s0, s42, s0
	s_add_i32 s17, s17, s16
	s_mul_i32 s16, s40, s15
	s_mul_i32 s15, s39, s11
	s_mul_hi_u32 s18, s38, s11
	s_mul_i32 s48, s3, s33
	s_add_i32 s19, s18, s15
	s_ashr_i32 s49, s48, 31
	s_lshl_b64 s[0:1], s[0:1], 2
	s_add_u32 s3, s36, s0
	v_add_f32_e32 v1, v1, v2
	s_mul_i32 s18, s38, s11
	s_addc_u32 s11, s37, s1
	v_div_scale_f32 v2, s[0:1], v4, v4, v1
	v_div_scale_f32 v5, vcc, v1, v4, v1
	s_load_dword s0, s[4:5], 0x30
	s_load_dwordx8 s[36:43], s[4:5], 0x88
	v_rcp_f32_e32 v6, v2
	v_fma_f32 v7, -v2, v6, 1.0
	v_fmac_f32_e32 v6, v7, v6
	v_mul_f32_e32 v7, v5, v6
	v_fma_f32 v8, -v2, v7, v5
	v_fmac_f32_e32 v7, v8, v6
	v_fma_f32 v2, -v2, v7, v5
	v_div_fmas_f32 v2, v2, v6, v7
	v_div_fixup_f32 v1, v2, v4, v1
	s_waitcnt lgkmcnt(0)
	v_add_f32_e32 v1, s0, v1
	s_mov_b32 s0, 0x800000
	v_cmp_gt_f32_e32 vcc, s0, v1
	s_lshl_b64 s[0:1], s[16:17], 2
	s_add_u32 s3, s3, s0
	s_addc_u32 s4, s11, s1
	s_lshl_b64 s[0:1], s[18:19], 2
	s_add_u32 s15, s3, s0
	s_mul_hi_u32 s0, s23, s6
	s_addc_u32 s16, s4, s1
	s_add_i32 s0, s6, s0
	s_lshr_b32 s0, s0, s24
	s_mul_i32 s0, s0, s25
	s_sub_i32 s3, s6, s0
	s_mul_hi_u32 s0, s26, s7
	s_add_i32 s0, s7, s0
	s_lshr_b32 s0, s0, s27
	s_mul_i32 s0, s0, s44
	s_sub_i32 s4, s7, s0
	s_mul_hi_u32 s0, s45, s8
	s_add_i32 s0, s8, s0
	s_lshr_b32 s0, s0, s46
	s_mul_i32 s0, s0, s47
	s_sub_i32 s0, s8, s0
	s_ashr_i32 s1, s0, 31
	s_mul_i32 s1, s42, s1
	s_mul_hi_u32 s5, s42, s0
	s_add_i32 s1, s5, s1
	s_mul_i32 s5, s43, s0
	s_add_i32 s1, s1, s5
	s_ashr_i32 s5, s4, 31
	s_mul_i32 s5, s40, s5
	s_mul_hi_u32 s6, s40, s4
	s_add_i32 s5, s6, s5
	s_mul_i32 s6, s41, s4
	s_add_i32 s5, s5, s6
	s_ashr_i32 s6, s3, 31
	s_mul_i32 s6, s38, s6
	s_mul_hi_u32 s7, s38, s3
	s_mul_i32 s0, s42, s0
	s_add_i32 s6, s7, s6
	s_mul_i32 s7, s39, s3
	s_add_i32 s7, s6, s7
	s_lshl_b64 s[0:1], s[0:1], 2
	v_mul_f32_e32 v2, 0x4b800000, v1
	s_mul_i32 s4, s40, s4
	s_mul_i32 s6, s38, s3
	s_add_u32 s3, s36, s0
	v_cndmask_b32_e32 v1, v1, v2, vcc
	s_addc_u32 s8, s37, s1
	s_lshl_b64 s[0:1], s[4:5], 2
	v_rsq_f32_e32 v1, v1
	s_add_u32 s3, s3, s0
	s_addc_u32 s4, s8, s1
	s_lshl_b64 s[0:1], s[6:7], 2
	s_add_u32 s17, s3, s0
	s_addc_u32 s18, s4, s1
	s_lshl_b64 s[6:7], s[48:49], 2
	v_mul_f32_e32 v2, 0x45800000, v1
	s_add_u32 s3, s30, s6
	v_cndmask_b32_e32 v9, v1, v2, vcc
	s_addc_u32 s6, s31, s7
	v_add_co_u32_e32 v1, vcc, s3, v3
	s_add_i32 s3, s60, s57
	s_add_i32 s35, s3, s61
	;; [unrolled: 1-line block ×4, first 2 shown]
	v_mov_b32_e32 v2, s6
	s_lshl_b64 s[6:7], s[34:35], 2
	s_lshl_b64 s[10:11], s[10:11], 2
	s_add_u32 s6, s6, s10
	s_addc_u32 s7, s7, s11
	s_add_i32 s3, s54, s9
	s_add_i32 s3, s3, s55
	s_lshl_b64 s[2:3], s[2:3], 2
	s_add_u32 s2, s6, s2
	s_addc_u32 s3, s7, s3
	s_add_u32 s2, s28, s2
	v_addc_co_u32_e32 v2, vcc, 0, v2, vcc
	s_addc_u32 s3, s29, s3
	v_mov_b32_e32 v4, s3
	v_add_co_u32_e32 v3, vcc, s2, v3
	v_mad_u64_u32 v[5:6], s[2:3], v0, s20, 0
	v_mad_u64_u32 v[7:8], s[2:3], v0, s12, 0
	s_mov_b32 s1, 0
	s_mov_b32 s0, s12
	;; [unrolled: 1-line block ×4, first 2 shown]
	v_addc_co_u32_e32 v4, vcc, 0, v4, vcc
	s_lshl_b64 s[4:5], s[4:5], 8
	s_lshl_b64 s[6:7], s[0:1], 8
	s_sub_i32 s10, 0, s14
	s_sub_i32 s11, 0, s22
	s_mov_b64 s[8:9], 0
	s_movk_i32 s12, 0x400
.LBB8_10:                               ; =>This Inner Loop Header: Depth=1
	v_add_u32_e32 v10, v0, v8
	v_add_u32_e32 v11, v0, v6
	v_lshrrev_b32_e32 v10, s13, v10
	v_lshrrev_b32_e32 v12, s21, v11
	v_mad_u64_u32 v[10:11], s[0:1], s10, v10, v[0:1]
	v_mad_u64_u32 v[12:13], s[0:1], s11, v12, v[0:1]
	v_ashrrev_i32_e32 v11, 31, v10
	v_lshlrev_b64 v[10:11], 2, v[10:11]
	v_ashrrev_i32_e32 v13, 31, v12
	v_mov_b32_e32 v15, s16
	v_lshlrev_b64 v[12:13], 2, v[12:13]
	v_add_co_u32_e32 v10, vcc, s15, v10
	v_addc_co_u32_e32 v11, vcc, v15, v11, vcc
	global_load_dword v14, v[3:4], off
	v_mov_b32_e32 v16, s18
	v_add_co_u32_e32 v12, vcc, s17, v12
	v_addc_co_u32_e32 v13, vcc, v16, v13, vcc
	global_load_dword v15, v[10:11], off
	global_load_dword v16, v[12:13], off
	v_add_co_u32_e32 v3, vcc, s12, v3
	v_mov_b32_e32 v10, s5
	v_add_co_u32_e64 v5, s[0:1], s4, v5
	v_mov_b32_e32 v11, s7
	v_add_co_u32_e64 v7, s[2:3], s6, v7
	v_addc_co_u32_e32 v4, vcc, 0, v4, vcc
	v_addc_co_u32_e64 v6, vcc, v6, v10, s[0:1]
	v_addc_co_u32_e64 v8, vcc, v8, v11, s[2:3]
	v_add_u32_e32 v0, 0x100, v0
	v_cmp_le_i32_e32 vcc, s33, v0
	s_or_b64 s[8:9], vcc, s[8:9]
	s_waitcnt vmcnt(2)
	v_mul_f32_e32 v10, v9, v14
	s_waitcnt vmcnt(0)
	v_fmac_f32_e32 v16, v10, v15
	global_store_dword v[1:2], v16, off
	v_add_co_u32_e32 v1, vcc, s12, v1
	v_addc_co_u32_e32 v2, vcc, 0, v2, vcc
	s_andn2_b64 exec, exec, s[8:9]
	s_cbranch_execnz .LBB8_10
.LBB8_11:
	s_endpgm
	.section	.rodata,"a",@progbits
	.p2align	6, 0x0
	.amdhsa_kernel _ZL12rms_norm_f32ILi256ELb1ELb1EEvPKfPfilllfS1_lll15HIP_vector_typeIjLj3EES4_S4_S4_S1_lllS4_S4_S4_S4_
		.amdhsa_group_segment_fixed_size 0
		.amdhsa_private_segment_fixed_size 0
		.amdhsa_kernarg_size 472
		.amdhsa_user_sgpr_count 6
		.amdhsa_user_sgpr_private_segment_buffer 1
		.amdhsa_user_sgpr_dispatch_ptr 0
		.amdhsa_user_sgpr_queue_ptr 0
		.amdhsa_user_sgpr_kernarg_segment_ptr 1
		.amdhsa_user_sgpr_dispatch_id 0
		.amdhsa_user_sgpr_flat_scratch_init 0
		.amdhsa_user_sgpr_private_segment_size 0
		.amdhsa_uses_dynamic_stack 0
		.amdhsa_system_sgpr_private_segment_wavefront_offset 0
		.amdhsa_system_sgpr_workgroup_id_x 1
		.amdhsa_system_sgpr_workgroup_id_y 1
		.amdhsa_system_sgpr_workgroup_id_z 1
		.amdhsa_system_sgpr_workgroup_info 0
		.amdhsa_system_vgpr_workitem_id 0
		.amdhsa_next_free_vgpr 17
		.amdhsa_next_free_sgpr 62
		.amdhsa_reserve_vcc 1
		.amdhsa_reserve_flat_scratch 0
		.amdhsa_float_round_mode_32 0
		.amdhsa_float_round_mode_16_64 0
		.amdhsa_float_denorm_mode_32 3
		.amdhsa_float_denorm_mode_16_64 3
		.amdhsa_dx10_clamp 1
		.amdhsa_ieee_mode 1
		.amdhsa_fp16_overflow 0
		.amdhsa_exception_fp_ieee_invalid_op 0
		.amdhsa_exception_fp_denorm_src 0
		.amdhsa_exception_fp_ieee_div_zero 0
		.amdhsa_exception_fp_ieee_overflow 0
		.amdhsa_exception_fp_ieee_underflow 0
		.amdhsa_exception_fp_ieee_inexact 0
		.amdhsa_exception_int_div_zero 0
	.end_amdhsa_kernel
	.section	.text._ZL12rms_norm_f32ILi256ELb1ELb1EEvPKfPfilllfS1_lll15HIP_vector_typeIjLj3EES4_S4_S4_S1_lllS4_S4_S4_S4_,"axG",@progbits,_ZL12rms_norm_f32ILi256ELb1ELb1EEvPKfPfilllfS1_lll15HIP_vector_typeIjLj3EES4_S4_S4_S1_lllS4_S4_S4_S4_,comdat
.Lfunc_end8:
	.size	_ZL12rms_norm_f32ILi256ELb1ELb1EEvPKfPfilllfS1_lll15HIP_vector_typeIjLj3EES4_S4_S4_S1_lllS4_S4_S4_S4_, .Lfunc_end8-_ZL12rms_norm_f32ILi256ELb1ELb1EEvPKfPfilllfS1_lll15HIP_vector_typeIjLj3EES4_S4_S4_S1_lllS4_S4_S4_S4_
                                        ; -- End function
	.set _ZL12rms_norm_f32ILi256ELb1ELb1EEvPKfPfilllfS1_lll15HIP_vector_typeIjLj3EES4_S4_S4_S1_lllS4_S4_S4_S4_.num_vgpr, 17
	.set _ZL12rms_norm_f32ILi256ELb1ELb1EEvPKfPfilllfS1_lll15HIP_vector_typeIjLj3EES4_S4_S4_S1_lllS4_S4_S4_S4_.num_agpr, 0
	.set _ZL12rms_norm_f32ILi256ELb1ELb1EEvPKfPfilllfS1_lll15HIP_vector_typeIjLj3EES4_S4_S4_S1_lllS4_S4_S4_S4_.numbered_sgpr, 62
	.set _ZL12rms_norm_f32ILi256ELb1ELb1EEvPKfPfilllfS1_lll15HIP_vector_typeIjLj3EES4_S4_S4_S1_lllS4_S4_S4_S4_.num_named_barrier, 0
	.set _ZL12rms_norm_f32ILi256ELb1ELb1EEvPKfPfilllfS1_lll15HIP_vector_typeIjLj3EES4_S4_S4_S1_lllS4_S4_S4_S4_.private_seg_size, 0
	.set _ZL12rms_norm_f32ILi256ELb1ELb1EEvPKfPfilllfS1_lll15HIP_vector_typeIjLj3EES4_S4_S4_S1_lllS4_S4_S4_S4_.uses_vcc, 1
	.set _ZL12rms_norm_f32ILi256ELb1ELb1EEvPKfPfilllfS1_lll15HIP_vector_typeIjLj3EES4_S4_S4_S1_lllS4_S4_S4_S4_.uses_flat_scratch, 0
	.set _ZL12rms_norm_f32ILi256ELb1ELb1EEvPKfPfilllfS1_lll15HIP_vector_typeIjLj3EES4_S4_S4_S1_lllS4_S4_S4_S4_.has_dyn_sized_stack, 0
	.set _ZL12rms_norm_f32ILi256ELb1ELb1EEvPKfPfilllfS1_lll15HIP_vector_typeIjLj3EES4_S4_S4_S1_lllS4_S4_S4_S4_.has_recursion, 0
	.set _ZL12rms_norm_f32ILi256ELb1ELb1EEvPKfPfilllfS1_lll15HIP_vector_typeIjLj3EES4_S4_S4_S1_lllS4_S4_S4_S4_.has_indirect_call, 0
	.section	.AMDGPU.csdata,"",@progbits
; Kernel info:
; codeLenInByte = 1520
; TotalNumSgprs: 66
; NumVgprs: 17
; ScratchSize: 0
; MemoryBound: 0
; FloatMode: 240
; IeeeMode: 1
; LDSByteSize: 0 bytes/workgroup (compile time only)
; SGPRBlocks: 8
; VGPRBlocks: 4
; NumSGPRsForWavesPerEU: 66
; NumVGPRsForWavesPerEU: 17
; Occupancy: 10
; WaveLimiterHint : 1
; COMPUTE_PGM_RSRC2:SCRATCH_EN: 0
; COMPUTE_PGM_RSRC2:USER_SGPR: 6
; COMPUTE_PGM_RSRC2:TRAP_HANDLER: 0
; COMPUTE_PGM_RSRC2:TGID_X_EN: 1
; COMPUTE_PGM_RSRC2:TGID_Y_EN: 1
; COMPUTE_PGM_RSRC2:TGID_Z_EN: 1
; COMPUTE_PGM_RSRC2:TIDIG_COMP_CNT: 0
	.section	.text._ZL12rms_norm_f32ILi1024ELb1ELb1EEvPKfPfilllfS1_lll15HIP_vector_typeIjLj3EES4_S4_S4_S1_lllS4_S4_S4_S4_,"axG",@progbits,_ZL12rms_norm_f32ILi1024ELb1ELb1EEvPKfPfilllfS1_lll15HIP_vector_typeIjLj3EES4_S4_S4_S1_lllS4_S4_S4_S4_,comdat
	.globl	_ZL12rms_norm_f32ILi1024ELb1ELb1EEvPKfPfilllfS1_lll15HIP_vector_typeIjLj3EES4_S4_S4_S1_lllS4_S4_S4_S4_ ; -- Begin function _ZL12rms_norm_f32ILi1024ELb1ELb1EEvPKfPfilllfS1_lll15HIP_vector_typeIjLj3EES4_S4_S4_S1_lllS4_S4_S4_S4_
	.p2align	8
	.type	_ZL12rms_norm_f32ILi1024ELb1ELb1EEvPKfPfilllfS1_lll15HIP_vector_typeIjLj3EES4_S4_S4_S1_lllS4_S4_S4_S4_,@function
_ZL12rms_norm_f32ILi1024ELb1ELb1EEvPKfPfilllfS1_lll15HIP_vector_typeIjLj3EES4_S4_S4_S1_lllS4_S4_S4_S4_: ; @_ZL12rms_norm_f32ILi1024ELb1ELb1EEvPKfPfilllfS1_lll15HIP_vector_typeIjLj3EES4_S4_S4_S1_lllS4_S4_S4_S4_
; %bb.0:
	s_load_dwordx4 s[28:31], s[4:5], 0x0
	s_load_dword s33, s[4:5], 0x10
	s_load_dwordx4 s[48:51], s[4:5], 0x18
	s_load_dwordx2 s[2:3], s[4:5], 0x28
	s_load_dwordx4 s[36:39], s[4:5], 0x78
	s_load_dwordx8 s[12:19], s[4:5], 0x58
	s_load_dwordx8 s[20:27], s[4:5], 0xa8
	s_load_dwordx4 s[44:47], s[4:5], 0xc8
	s_load_dwordx2 s[40:41], s[4:5], 0xd8
	s_ashr_i32 s9, s8, 31
	s_ashr_i32 s10, s7, 31
	s_ashr_i32 s11, s6, 31
	s_waitcnt lgkmcnt(0)
	v_cmp_gt_i32_e64 s[0:1], s33, v0
	v_mov_b32_e32 v4, 0
	s_mul_i32 s54, s2, s9
	s_mul_hi_u32 s57, s2, s8
	s_mul_i32 s58, s3, s8
	s_mul_i32 s34, s2, s8
	s_mul_i32 s53, s50, s10
	s_mul_hi_u32 s55, s50, s7
	s_mul_i32 s56, s51, s7
	s_mul_i32 s10, s50, s7
	;; [unrolled: 4-line block ×3, first 2 shown]
	v_lshlrev_b32_e32 v3, 2, v0
	s_and_saveexec_b64 s[42:43], s[0:1]
	s_cbranch_execz .LBB9_4
; %bb.1:
	s_add_i32 s3, s57, s54
	s_add_i32 s35, s3, s58
	s_add_i32 s3, s55, s53
	s_add_i32 s11, s3, s56
	s_lshl_b64 s[48:49], s[34:35], 2
	s_lshl_b64 s[60:61], s[10:11], 2
	s_add_u32 s9, s48, s60
	s_addc_u32 s11, s49, s61
	s_add_i32 s3, s51, s50
	s_add_i32 s3, s3, s52
	s_lshl_b64 s[48:49], s[2:3], 2
	s_add_u32 s3, s9, s48
	s_addc_u32 s9, s11, s49
	s_add_u32 s3, s28, s3
	s_addc_u32 s9, s29, s9
	v_mov_b32_e32 v2, s9
	v_add_co_u32_e32 v1, vcc, s3, v3
	v_mov_b32_e32 v4, 0
	v_addc_co_u32_e32 v2, vcc, 0, v2, vcc
	s_mov_b64 s[48:49], 0
	v_mov_b32_e32 v5, v0
.LBB9_2:                                ; =>This Inner Loop Header: Depth=1
	global_load_dword v6, v[1:2], off
	v_add_co_u32_e32 v1, vcc, 0x1000, v1
	v_add_u32_e32 v5, 0x400, v5
	v_addc_co_u32_e32 v2, vcc, 0, v2, vcc
	v_cmp_le_i32_e32 vcc, s33, v5
	s_or_b64 s[48:49], vcc, s[48:49]
	s_waitcnt vmcnt(0)
	v_fmac_f32_e32 v4, v6, v6
	s_andn2_b64 exec, exec, s[48:49]
	s_cbranch_execnz .LBB9_2
; %bb.3:
	s_or_b64 exec, exec, s[48:49]
.LBB9_4:
	s_or_b64 exec, exec, s[42:43]
	v_mbcnt_lo_u32_b32 v1, -1, 0
	v_mbcnt_hi_u32_b32 v6, -1, v1
	v_and_b32_e32 v1, 0x60, v6
	v_add_u32_e32 v7, 32, v1
	v_xor_b32_e32 v1, 16, v6
	v_cmp_lt_i32_e32 vcc, v1, v7
	v_cndmask_b32_e32 v1, v6, v1, vcc
	v_lshlrev_b32_e32 v1, 2, v1
	ds_bpermute_b32 v2, v1, v4
	v_xor_b32_e32 v5, 8, v6
	v_cmp_lt_i32_e32 vcc, v5, v7
	v_xor_b32_e32 v8, 4, v6
	v_xor_b32_e32 v9, 2, v6
	s_waitcnt lgkmcnt(0)
	v_add_f32_e32 v4, v4, v2
	v_cndmask_b32_e32 v2, v6, v5, vcc
	v_lshlrev_b32_e32 v2, 2, v2
	ds_bpermute_b32 v5, v2, v4
	v_cmp_lt_i32_e32 vcc, v8, v7
	v_xor_b32_e32 v10, 1, v6
	s_waitcnt lgkmcnt(0)
	v_add_f32_e32 v5, v4, v5
	v_cndmask_b32_e32 v4, v6, v8, vcc
	v_lshlrev_b32_e32 v4, 2, v4
	ds_bpermute_b32 v8, v4, v5
	v_cmp_lt_i32_e32 vcc, v9, v7
	s_waitcnt lgkmcnt(0)
	v_add_f32_e32 v8, v5, v8
	v_cndmask_b32_e32 v5, v6, v9, vcc
	v_lshlrev_b32_e32 v5, 2, v5
	ds_bpermute_b32 v9, v5, v8
	v_cmp_lt_i32_e32 vcc, v10, v7
	v_cndmask_b32_e32 v6, v6, v10, vcc
	v_lshlrev_b32_e32 v6, 2, v6
	v_and_b32_e32 v7, 31, v0
	s_waitcnt lgkmcnt(0)
	v_add_f32_e32 v8, v8, v9
	ds_bpermute_b32 v9, v6, v8
	v_cmp_eq_u32_e32 vcc, 0, v7
	s_and_saveexec_b64 s[42:43], vcc
	s_cbranch_execz .LBB9_6
; %bb.5:
	s_waitcnt lgkmcnt(0)
	v_add_f32_e32 v8, v8, v9
	v_lshrrev_b32_e32 v9, 3, v0
	v_add_u32_e32 v9, 0, v9
	ds_write_b32 v9, v8
.LBB9_6:
	s_or_b64 exec, exec, s[42:43]
	v_lshl_add_u32 v7, v7, 2, 0
	s_waitcnt lgkmcnt(0)
	s_barrier
	ds_read_b32 v7, v7
	s_mov_b32 s9, 0
	s_waitcnt lgkmcnt(0)
	ds_bpermute_b32 v1, v1, v7
	s_waitcnt lgkmcnt(0)
	v_add_f32_e32 v1, v7, v1
	ds_bpermute_b32 v2, v2, v1
	s_waitcnt lgkmcnt(0)
	v_add_f32_e32 v1, v1, v2
	;; [unrolled: 3-line block ×4, first 2 shown]
	ds_bpermute_b32 v2, v6, v1
	s_and_saveexec_b64 s[42:43], s[0:1]
	s_cbranch_execz .LBB9_9
; %bb.7:
	s_mul_hi_u32 s0, s18, s7
	s_mul_hi_u32 s1, s37, s8
	s_load_dwordx8 s[60:67], s[4:5], 0x38
	s_add_i32 s0, s7, s0
	s_add_i32 s1, s8, s1
	s_lshr_b32 s0, s0, s19
	s_lshr_b32 s1, s1, s38
	s_mul_i32 s0, s0, s36
	s_mul_i32 s1, s1, s39
	s_sub_i32 s11, s7, s0
	s_sub_i32 s0, s8, s1
	s_waitcnt lgkmcnt(0)
	s_mul_i32 s1, s67, s0
	s_mul_hi_u32 s18, s66, s0
	s_add_i32 s1, s18, s1
	s_mul_i32 s18, s65, s11
	s_mul_hi_u32 s19, s64, s11
	s_add_i32 s19, s19, s18
	s_mul_i32 s18, s64, s11
	s_mul_hi_u32 s11, s15, s6
	s_mul_i32 s3, s41, s8
	s_add_i32 s11, s6, s11
	s_add_i32 s3, s3, s7
	s_lshr_b32 s11, s11, s16
	s_mul_i32 s3, s3, s40
	s_mul_i32 s11, s11, s17
	s_sub_i32 s11, s6, s11
	s_add_i32 s3, s3, s6
	v_cvt_f32_i32_e32 v4, s33
	s_mul_i32 s0, s66, s0
	s_mul_i32 s15, s63, s11
	s_mul_hi_u32 s16, s62, s11
	s_mul_i32 s48, s3, s33
	s_add_i32 s17, s16, s15
	s_ashr_i32 s49, s48, 31
	s_lshl_b64 s[0:1], s[0:1], 2
	s_add_u32 s3, s60, s0
	v_add_f32_e32 v1, v1, v2
	s_mul_i32 s16, s62, s11
	s_addc_u32 s11, s61, s1
	v_div_scale_f32 v2, s[0:1], v4, v4, v1
	v_div_scale_f32 v5, vcc, v1, v4, v1
	s_load_dword s0, s[4:5], 0x30
	s_load_dwordx8 s[36:43], s[4:5], 0x88
	v_rcp_f32_e32 v6, v2
	v_fma_f32 v7, -v2, v6, 1.0
	v_fmac_f32_e32 v6, v7, v6
	v_mul_f32_e32 v7, v5, v6
	v_fma_f32 v8, -v2, v7, v5
	v_fmac_f32_e32 v7, v8, v6
	v_fma_f32 v2, -v2, v7, v5
	v_div_fmas_f32 v2, v2, v6, v7
	v_div_fixup_f32 v1, v2, v4, v1
	s_waitcnt lgkmcnt(0)
	v_add_f32_e32 v1, s0, v1
	s_mov_b32 s0, 0x800000
	v_cmp_gt_f32_e32 vcc, s0, v1
	s_lshl_b64 s[0:1], s[18:19], 2
	s_add_u32 s3, s3, s0
	s_addc_u32 s11, s11, s1
	s_lshl_b64 s[0:1], s[16:17], 2
	s_add_u32 s15, s3, s0
	s_mul_hi_u32 s0, s23, s6
	s_addc_u32 s16, s11, s1
	s_add_i32 s0, s6, s0
	s_lshr_b32 s0, s0, s24
	s_mul_i32 s0, s0, s25
	s_sub_i32 s3, s6, s0
	s_mul_hi_u32 s0, s26, s7
	s_add_i32 s0, s7, s0
	s_lshr_b32 s0, s0, s27
	s_mul_i32 s0, s0, s44
	s_sub_i32 s4, s7, s0
	s_mul_hi_u32 s0, s45, s8
	s_add_i32 s0, s8, s0
	s_lshr_b32 s0, s0, s46
	s_mul_i32 s0, s0, s47
	s_sub_i32 s0, s8, s0
	s_ashr_i32 s1, s0, 31
	s_mul_i32 s1, s42, s1
	s_mul_hi_u32 s5, s42, s0
	s_add_i32 s1, s5, s1
	s_mul_i32 s5, s43, s0
	s_add_i32 s1, s1, s5
	s_ashr_i32 s5, s4, 31
	s_mul_i32 s5, s40, s5
	s_mul_hi_u32 s6, s40, s4
	s_add_i32 s5, s6, s5
	s_mul_i32 s6, s41, s4
	s_add_i32 s5, s5, s6
	s_ashr_i32 s6, s3, 31
	s_mul_i32 s6, s38, s6
	s_mul_hi_u32 s7, s38, s3
	s_mul_i32 s0, s42, s0
	s_add_i32 s6, s7, s6
	s_mul_i32 s7, s39, s3
	s_add_i32 s7, s6, s7
	s_lshl_b64 s[0:1], s[0:1], 2
	v_mul_f32_e32 v2, 0x4b800000, v1
	s_mul_i32 s4, s40, s4
	s_mul_i32 s6, s38, s3
	s_add_u32 s3, s36, s0
	v_cndmask_b32_e32 v1, v1, v2, vcc
	s_addc_u32 s8, s37, s1
	s_lshl_b64 s[0:1], s[4:5], 2
	v_rsq_f32_e32 v1, v1
	s_add_u32 s3, s3, s0
	s_addc_u32 s4, s8, s1
	s_lshl_b64 s[0:1], s[6:7], 2
	s_add_u32 s17, s3, s0
	s_addc_u32 s18, s4, s1
	s_lshl_b64 s[4:5], s[48:49], 2
	v_mul_f32_e32 v2, 0x45800000, v1
	s_add_u32 s3, s30, s4
	v_cndmask_b32_e32 v9, v1, v2, vcc
	s_addc_u32 s4, s31, s5
	v_add_co_u32_e32 v1, vcc, s3, v3
	s_add_i32 s3, s57, s54
	s_add_i32 s35, s3, s58
	;; [unrolled: 1-line block ×4, first 2 shown]
	v_mov_b32_e32 v2, s4
	s_lshl_b64 s[4:5], s[34:35], 2
	s_lshl_b64 s[6:7], s[10:11], 2
	s_add_u32 s4, s4, s6
	s_addc_u32 s5, s5, s7
	s_add_i32 s3, s51, s50
	s_add_i32 s3, s3, s52
	s_lshl_b64 s[2:3], s[2:3], 2
	s_add_u32 s2, s4, s2
	s_addc_u32 s3, s5, s3
	s_add_u32 s2, s28, s2
	s_mov_b32 s0, s20
	s_mov_b32 s1, s9
	v_addc_co_u32_e32 v2, vcc, 0, v2, vcc
	s_addc_u32 s3, s29, s3
	v_mov_b32_e32 v4, s3
	v_add_co_u32_e32 v3, vcc, s2, v3
	v_mad_u64_u32 v[5:6], s[2:3], v0, s20, 0
	s_lshl_b64 s[4:5], s[0:1], 10
	v_mad_u64_u32 v[7:8], s[0:1], v0, s12, 0
	s_mov_b32 s8, s12
	v_addc_co_u32_e32 v4, vcc, 0, v4, vcc
	s_lshl_b64 s[6:7], s[8:9], 10
	s_sub_i32 s10, 0, s14
	s_sub_i32 s11, 0, s22
	s_mov_b64 s[8:9], 0
	s_movk_i32 s12, 0x1000
.LBB9_8:                                ; =>This Inner Loop Header: Depth=1
	v_add_u32_e32 v10, v0, v8
	v_add_u32_e32 v11, v0, v6
	v_lshrrev_b32_e32 v10, s13, v10
	v_lshrrev_b32_e32 v12, s21, v11
	v_mad_u64_u32 v[10:11], s[0:1], s10, v10, v[0:1]
	v_mad_u64_u32 v[12:13], s[0:1], s11, v12, v[0:1]
	v_ashrrev_i32_e32 v11, 31, v10
	v_lshlrev_b64 v[10:11], 2, v[10:11]
	v_ashrrev_i32_e32 v13, 31, v12
	v_mov_b32_e32 v15, s16
	v_lshlrev_b64 v[12:13], 2, v[12:13]
	v_add_co_u32_e32 v10, vcc, s15, v10
	v_addc_co_u32_e32 v11, vcc, v15, v11, vcc
	global_load_dword v14, v[3:4], off
	v_mov_b32_e32 v16, s18
	v_add_co_u32_e32 v12, vcc, s17, v12
	v_addc_co_u32_e32 v13, vcc, v16, v13, vcc
	global_load_dword v15, v[10:11], off
	global_load_dword v16, v[12:13], off
	v_add_co_u32_e32 v3, vcc, s12, v3
	v_mov_b32_e32 v10, s5
	v_add_co_u32_e64 v5, s[0:1], s4, v5
	v_mov_b32_e32 v11, s7
	v_add_co_u32_e64 v7, s[2:3], s6, v7
	v_addc_co_u32_e32 v4, vcc, 0, v4, vcc
	v_addc_co_u32_e64 v6, vcc, v6, v10, s[0:1]
	v_addc_co_u32_e64 v8, vcc, v8, v11, s[2:3]
	v_add_u32_e32 v0, 0x400, v0
	v_cmp_le_i32_e32 vcc, s33, v0
	s_or_b64 s[8:9], vcc, s[8:9]
	s_waitcnt vmcnt(2)
	v_mul_f32_e32 v10, v9, v14
	s_waitcnt vmcnt(0)
	v_fmac_f32_e32 v16, v10, v15
	global_store_dword v[1:2], v16, off
	v_add_co_u32_e32 v1, vcc, s12, v1
	v_addc_co_u32_e32 v2, vcc, 0, v2, vcc
	s_andn2_b64 exec, exec, s[8:9]
	s_cbranch_execnz .LBB9_8
.LBB9_9:
	s_endpgm
	.section	.rodata,"a",@progbits
	.p2align	6, 0x0
	.amdhsa_kernel _ZL12rms_norm_f32ILi1024ELb1ELb1EEvPKfPfilllfS1_lll15HIP_vector_typeIjLj3EES4_S4_S4_S1_lllS4_S4_S4_S4_
		.amdhsa_group_segment_fixed_size 0
		.amdhsa_private_segment_fixed_size 0
		.amdhsa_kernarg_size 472
		.amdhsa_user_sgpr_count 6
		.amdhsa_user_sgpr_private_segment_buffer 1
		.amdhsa_user_sgpr_dispatch_ptr 0
		.amdhsa_user_sgpr_queue_ptr 0
		.amdhsa_user_sgpr_kernarg_segment_ptr 1
		.amdhsa_user_sgpr_dispatch_id 0
		.amdhsa_user_sgpr_flat_scratch_init 0
		.amdhsa_user_sgpr_private_segment_size 0
		.amdhsa_uses_dynamic_stack 0
		.amdhsa_system_sgpr_private_segment_wavefront_offset 0
		.amdhsa_system_sgpr_workgroup_id_x 1
		.amdhsa_system_sgpr_workgroup_id_y 1
		.amdhsa_system_sgpr_workgroup_id_z 1
		.amdhsa_system_sgpr_workgroup_info 0
		.amdhsa_system_vgpr_workitem_id 0
		.amdhsa_next_free_vgpr 17
		.amdhsa_next_free_sgpr 68
		.amdhsa_reserve_vcc 1
		.amdhsa_reserve_flat_scratch 0
		.amdhsa_float_round_mode_32 0
		.amdhsa_float_round_mode_16_64 0
		.amdhsa_float_denorm_mode_32 3
		.amdhsa_float_denorm_mode_16_64 3
		.amdhsa_dx10_clamp 1
		.amdhsa_ieee_mode 1
		.amdhsa_fp16_overflow 0
		.amdhsa_exception_fp_ieee_invalid_op 0
		.amdhsa_exception_fp_denorm_src 0
		.amdhsa_exception_fp_ieee_div_zero 0
		.amdhsa_exception_fp_ieee_overflow 0
		.amdhsa_exception_fp_ieee_underflow 0
		.amdhsa_exception_fp_ieee_inexact 0
		.amdhsa_exception_int_div_zero 0
	.end_amdhsa_kernel
	.section	.text._ZL12rms_norm_f32ILi1024ELb1ELb1EEvPKfPfilllfS1_lll15HIP_vector_typeIjLj3EES4_S4_S4_S1_lllS4_S4_S4_S4_,"axG",@progbits,_ZL12rms_norm_f32ILi1024ELb1ELb1EEvPKfPfilllfS1_lll15HIP_vector_typeIjLj3EES4_S4_S4_S1_lllS4_S4_S4_S4_,comdat
.Lfunc_end9:
	.size	_ZL12rms_norm_f32ILi1024ELb1ELb1EEvPKfPfilllfS1_lll15HIP_vector_typeIjLj3EES4_S4_S4_S1_lllS4_S4_S4_S4_, .Lfunc_end9-_ZL12rms_norm_f32ILi1024ELb1ELb1EEvPKfPfilllfS1_lll15HIP_vector_typeIjLj3EES4_S4_S4_S1_lllS4_S4_S4_S4_
                                        ; -- End function
	.set _ZL12rms_norm_f32ILi1024ELb1ELb1EEvPKfPfilllfS1_lll15HIP_vector_typeIjLj3EES4_S4_S4_S1_lllS4_S4_S4_S4_.num_vgpr, 17
	.set _ZL12rms_norm_f32ILi1024ELb1ELb1EEvPKfPfilllfS1_lll15HIP_vector_typeIjLj3EES4_S4_S4_S1_lllS4_S4_S4_S4_.num_agpr, 0
	.set _ZL12rms_norm_f32ILi1024ELb1ELb1EEvPKfPfilllfS1_lll15HIP_vector_typeIjLj3EES4_S4_S4_S1_lllS4_S4_S4_S4_.numbered_sgpr, 68
	.set _ZL12rms_norm_f32ILi1024ELb1ELb1EEvPKfPfilllfS1_lll15HIP_vector_typeIjLj3EES4_S4_S4_S1_lllS4_S4_S4_S4_.num_named_barrier, 0
	.set _ZL12rms_norm_f32ILi1024ELb1ELb1EEvPKfPfilllfS1_lll15HIP_vector_typeIjLj3EES4_S4_S4_S1_lllS4_S4_S4_S4_.private_seg_size, 0
	.set _ZL12rms_norm_f32ILi1024ELb1ELb1EEvPKfPfilllfS1_lll15HIP_vector_typeIjLj3EES4_S4_S4_S1_lllS4_S4_S4_S4_.uses_vcc, 1
	.set _ZL12rms_norm_f32ILi1024ELb1ELb1EEvPKfPfilllfS1_lll15HIP_vector_typeIjLj3EES4_S4_S4_S1_lllS4_S4_S4_S4_.uses_flat_scratch, 0
	.set _ZL12rms_norm_f32ILi1024ELb1ELb1EEvPKfPfilllfS1_lll15HIP_vector_typeIjLj3EES4_S4_S4_S1_lllS4_S4_S4_S4_.has_dyn_sized_stack, 0
	.set _ZL12rms_norm_f32ILi1024ELb1ELb1EEvPKfPfilllfS1_lll15HIP_vector_typeIjLj3EES4_S4_S4_S1_lllS4_S4_S4_S4_.has_recursion, 0
	.set _ZL12rms_norm_f32ILi1024ELb1ELb1EEvPKfPfilllfS1_lll15HIP_vector_typeIjLj3EES4_S4_S4_S1_lllS4_S4_S4_S4_.has_indirect_call, 0
	.section	.AMDGPU.csdata,"",@progbits
; Kernel info:
; codeLenInByte = 1504
; TotalNumSgprs: 72
; NumVgprs: 17
; ScratchSize: 0
; MemoryBound: 0
; FloatMode: 240
; IeeeMode: 1
; LDSByteSize: 0 bytes/workgroup (compile time only)
; SGPRBlocks: 8
; VGPRBlocks: 4
; NumSGPRsForWavesPerEU: 72
; NumVGPRsForWavesPerEU: 17
; Occupancy: 10
; WaveLimiterHint : 1
; COMPUTE_PGM_RSRC2:SCRATCH_EN: 0
; COMPUTE_PGM_RSRC2:USER_SGPR: 6
; COMPUTE_PGM_RSRC2:TRAP_HANDLER: 0
; COMPUTE_PGM_RSRC2:TGID_X_EN: 1
; COMPUTE_PGM_RSRC2:TGID_Y_EN: 1
; COMPUTE_PGM_RSRC2:TGID_Z_EN: 1
; COMPUTE_PGM_RSRC2:TIDIG_COMP_CNT: 0
	.section	.text._ZL17rms_norm_back_f32ILi32EEvPKfS1_Pfif,"axG",@progbits,_ZL17rms_norm_back_f32ILi32EEvPKfS1_Pfif,comdat
	.globl	_ZL17rms_norm_back_f32ILi32EEvPKfS1_Pfif ; -- Begin function _ZL17rms_norm_back_f32ILi32EEvPKfS1_Pfif
	.p2align	8
	.type	_ZL17rms_norm_back_f32ILi32EEvPKfS1_Pfif,@function
_ZL17rms_norm_back_f32ILi32EEvPKfS1_Pfif: ; @_ZL17rms_norm_back_f32ILi32EEvPKfS1_Pfif
; %bb.0:
	s_load_dword s0, s[4:5], 0x2c
	s_load_dwordx8 s[8:15], s[4:5], 0x0
	v_mov_b32_e32 v8, 0
	v_lshlrev_b32_e32 v5, 2, v0
	v_mov_b32_e32 v7, 0
	s_waitcnt lgkmcnt(0)
	s_lshr_b32 s0, s0, 16
	s_mul_i32 s6, s6, s0
	v_add_u32_e32 v6, s6, v1
	v_cmp_gt_i32_e64 s[0:1], s14, v0
	s_and_saveexec_b64 s[4:5], s[0:1]
	s_cbranch_execz .LBB10_4
; %bb.1:
	v_mad_i64_i32 v[1:2], s[2:3], s14, v6, 0
	v_mov_b32_e32 v7, s9
	v_mov_b32_e32 v8, 0
	v_lshlrev_b64 v[1:2], 2, v[1:2]
	s_mov_b64 s[6:7], 0
	v_add_co_u32_e32 v3, vcc, v1, v5
	v_addc_co_u32_e32 v4, vcc, 0, v2, vcc
	v_mov_b32_e32 v2, s11
	v_add_co_u32_e32 v1, vcc, s10, v3
	v_addc_co_u32_e32 v2, vcc, v2, v4, vcc
	v_add_co_u32_e32 v3, vcc, s8, v3
	v_addc_co_u32_e32 v4, vcc, v7, v4, vcc
	v_mov_b32_e32 v7, 0
	v_mov_b32_e32 v9, v0
.LBB10_2:                               ; =>This Inner Loop Header: Depth=1
	global_load_dword v10, v[1:2], off
	global_load_dword v11, v[3:4], off
	v_add_co_u32_e32 v1, vcc, 0x80, v1
	v_add_u32_e32 v9, 32, v9
	v_addc_co_u32_e32 v2, vcc, 0, v2, vcc
	v_add_co_u32_e32 v3, vcc, 0x80, v3
	v_cmp_le_i32_e64 s[2:3], s14, v9
	v_addc_co_u32_e32 v4, vcc, 0, v4, vcc
	s_or_b64 s[6:7], s[2:3], s[6:7]
	s_waitcnt vmcnt(1)
	v_fmac_f32_e32 v8, v10, v10
	s_waitcnt vmcnt(0)
	v_fmac_f32_e32 v7, v10, v11
	s_andn2_b64 exec, exec, s[6:7]
	s_cbranch_execnz .LBB10_2
; %bb.3:
	s_or_b64 exec, exec, s[6:7]
.LBB10_4:
	s_or_b64 exec, exec, s[4:5]
	v_mbcnt_lo_u32_b32 v1, -1, 0
	v_mbcnt_hi_u32_b32 v1, -1, v1
	v_and_b32_e32 v2, 0x60, v1
	v_add_u32_e32 v2, 32, v2
	v_xor_b32_e32 v3, 16, v1
	v_cmp_lt_i32_e32 vcc, v3, v2
	v_cndmask_b32_e32 v3, v1, v3, vcc
	v_lshlrev_b32_e32 v3, 2, v3
	ds_bpermute_b32 v4, v3, v8
	v_xor_b32_e32 v9, 8, v1
	v_cmp_lt_i32_e32 vcc, v9, v2
	ds_bpermute_b32 v3, v3, v7
	v_xor_b32_e32 v10, 4, v1
	s_waitcnt lgkmcnt(1)
	v_add_f32_e32 v4, v8, v4
	v_cndmask_b32_e32 v8, v1, v9, vcc
	v_lshlrev_b32_e32 v8, 2, v8
	ds_bpermute_b32 v9, v8, v4
	s_waitcnt lgkmcnt(1)
	v_add_f32_e32 v3, v7, v3
	v_cmp_lt_i32_e32 vcc, v10, v2
	ds_bpermute_b32 v7, v8, v3
	v_xor_b32_e32 v11, 2, v1
	s_waitcnt lgkmcnt(1)
	v_add_f32_e32 v4, v4, v9
	v_cndmask_b32_e32 v9, v1, v10, vcc
	v_lshlrev_b32_e32 v9, 2, v9
	ds_bpermute_b32 v10, v9, v4
	s_waitcnt lgkmcnt(1)
	v_add_f32_e32 v7, v3, v7
	v_cmp_lt_i32_e32 vcc, v11, v2
	ds_bpermute_b32 v9, v9, v7
	v_cndmask_b32_e32 v8, v1, v11, vcc
	s_waitcnt lgkmcnt(1)
	v_add_f32_e32 v4, v4, v10
	v_lshlrev_b32_e32 v8, 2, v8
	ds_bpermute_b32 v10, v8, v4
	s_waitcnt lgkmcnt(1)
	v_add_f32_e32 v7, v7, v9
	ds_bpermute_b32 v8, v8, v7
	s_waitcnt lgkmcnt(1)
	v_add_f32_e32 v3, v4, v10
	v_xor_b32_e32 v4, 1, v1
	v_cmp_lt_i32_e32 vcc, v4, v2
	v_cndmask_b32_e32 v1, v1, v4, vcc
	v_lshlrev_b32_e32 v2, 2, v1
	s_waitcnt lgkmcnt(0)
	v_add_f32_e32 v1, v7, v8
	ds_bpermute_b32 v4, v2, v3
	ds_bpermute_b32 v2, v2, v1
	s_and_saveexec_b64 s[2:3], s[0:1]
	s_cbranch_execz .LBB10_7
; %bb.5:
	v_cvt_f32_i32_e32 v7, s14
	s_waitcnt lgkmcnt(1)
	v_add_f32_e32 v8, v3, v4
	s_waitcnt lgkmcnt(0)
	v_add_f32_e32 v1, v1, v2
	v_mov_b32_e32 v12, s13
	v_div_scale_f32 v3, s[0:1], v7, v7, v8
	v_div_scale_f32 v4, vcc, v8, v7, v8
	s_mov_b32 s0, 0x800000
	s_mov_b64 s[2:3], 0
	v_rcp_f32_e32 v9, v3
	v_fma_f32 v10, -v3, v9, 1.0
	v_fmac_f32_e32 v9, v10, v9
	v_mul_f32_e32 v10, v4, v9
	v_fma_f32 v11, -v3, v10, v4
	v_fmac_f32_e32 v10, v11, v9
	v_fma_f32 v3, -v3, v10, v4
	v_div_fmas_f32 v3, v3, v9, v10
	v_mov_b32_e32 v11, s11
	v_div_fixup_f32 v3, v3, v7, v8
	v_add_f32_e32 v3, s15, v3
	v_mul_f32_e32 v4, 0x4b800000, v3
	v_cmp_gt_f32_e32 vcc, s0, v3
	v_cndmask_b32_e32 v3, v3, v4, vcc
	v_rsq_f32_e32 v3, v3
	v_fmac_f32_e32 v8, s15, v7
	v_mul_f32_e32 v2, 0x45800000, v3
	v_cndmask_b32_e32 v7, v3, v2, vcc
	v_mul_f32_e64 v9, v1, -v7
	v_div_scale_f32 v3, s[0:1], v8, v8, v9
	v_div_scale_f32 v4, vcc, v9, v8, v9
	v_mad_i64_i32 v[1:2], s[0:1], s14, v6, 0
	v_mov_b32_e32 v6, s9
	v_lshlrev_b64 v[1:2], 2, v[1:2]
	v_rcp_f32_e32 v10, v3
	v_fma_f32 v13, -v3, v10, 1.0
	v_fmac_f32_e32 v10, v13, v10
	v_mul_f32_e32 v13, v4, v10
	v_fma_f32 v14, -v3, v13, v4
	v_fmac_f32_e32 v13, v14, v10
	v_fma_f32 v3, -v3, v13, v4
	v_div_fmas_f32 v10, v3, v10, v13
	v_add_co_u32_e32 v5, vcc, v1, v5
	v_addc_co_u32_e32 v13, vcc, 0, v2, vcc
	v_add_co_u32_e32 v1, vcc, s8, v5
	v_addc_co_u32_e32 v2, vcc, v6, v13, vcc
	;; [unrolled: 2-line block ×4, first 2 shown]
	v_div_fixup_f32 v8, v10, v8, v9
.LBB10_6:                               ; =>This Inner Loop Header: Depth=1
	global_load_dword v9, v[3:4], off
	global_load_dword v10, v[1:2], off
	v_add_co_u32_e32 v1, vcc, 0x80, v1
	v_addc_co_u32_e32 v2, vcc, 0, v2, vcc
	v_add_co_u32_e32 v3, vcc, 0x80, v3
	v_add_u32_e32 v0, 32, v0
	v_addc_co_u32_e32 v4, vcc, 0, v4, vcc
	v_cmp_le_i32_e64 s[0:1], s14, v0
	s_or_b64 s[2:3], s[0:1], s[2:3]
	s_waitcnt vmcnt(1)
	v_mul_f32_e32 v9, v8, v9
	s_waitcnt vmcnt(0)
	v_fmac_f32_e32 v9, v7, v10
	global_store_dword v[5:6], v9, off
	v_add_co_u32_e32 v5, vcc, 0x80, v5
	v_addc_co_u32_e32 v6, vcc, 0, v6, vcc
	s_andn2_b64 exec, exec, s[2:3]
	s_cbranch_execnz .LBB10_6
.LBB10_7:
	s_endpgm
	.section	.rodata,"a",@progbits
	.p2align	6, 0x0
	.amdhsa_kernel _ZL17rms_norm_back_f32ILi32EEvPKfS1_Pfif
		.amdhsa_group_segment_fixed_size 0
		.amdhsa_private_segment_fixed_size 0
		.amdhsa_kernarg_size 288
		.amdhsa_user_sgpr_count 6
		.amdhsa_user_sgpr_private_segment_buffer 1
		.amdhsa_user_sgpr_dispatch_ptr 0
		.amdhsa_user_sgpr_queue_ptr 0
		.amdhsa_user_sgpr_kernarg_segment_ptr 1
		.amdhsa_user_sgpr_dispatch_id 0
		.amdhsa_user_sgpr_flat_scratch_init 0
		.amdhsa_user_sgpr_private_segment_size 0
		.amdhsa_uses_dynamic_stack 0
		.amdhsa_system_sgpr_private_segment_wavefront_offset 0
		.amdhsa_system_sgpr_workgroup_id_x 1
		.amdhsa_system_sgpr_workgroup_id_y 0
		.amdhsa_system_sgpr_workgroup_id_z 0
		.amdhsa_system_sgpr_workgroup_info 0
		.amdhsa_system_vgpr_workitem_id 1
		.amdhsa_next_free_vgpr 15
		.amdhsa_next_free_sgpr 16
		.amdhsa_reserve_vcc 1
		.amdhsa_reserve_flat_scratch 0
		.amdhsa_float_round_mode_32 0
		.amdhsa_float_round_mode_16_64 0
		.amdhsa_float_denorm_mode_32 3
		.amdhsa_float_denorm_mode_16_64 3
		.amdhsa_dx10_clamp 1
		.amdhsa_ieee_mode 1
		.amdhsa_fp16_overflow 0
		.amdhsa_exception_fp_ieee_invalid_op 0
		.amdhsa_exception_fp_denorm_src 0
		.amdhsa_exception_fp_ieee_div_zero 0
		.amdhsa_exception_fp_ieee_overflow 0
		.amdhsa_exception_fp_ieee_underflow 0
		.amdhsa_exception_fp_ieee_inexact 0
		.amdhsa_exception_int_div_zero 0
	.end_amdhsa_kernel
	.section	.text._ZL17rms_norm_back_f32ILi32EEvPKfS1_Pfif,"axG",@progbits,_ZL17rms_norm_back_f32ILi32EEvPKfS1_Pfif,comdat
.Lfunc_end10:
	.size	_ZL17rms_norm_back_f32ILi32EEvPKfS1_Pfif, .Lfunc_end10-_ZL17rms_norm_back_f32ILi32EEvPKfS1_Pfif
                                        ; -- End function
	.set _ZL17rms_norm_back_f32ILi32EEvPKfS1_Pfif.num_vgpr, 15
	.set _ZL17rms_norm_back_f32ILi32EEvPKfS1_Pfif.num_agpr, 0
	.set _ZL17rms_norm_back_f32ILi32EEvPKfS1_Pfif.numbered_sgpr, 16
	.set _ZL17rms_norm_back_f32ILi32EEvPKfS1_Pfif.num_named_barrier, 0
	.set _ZL17rms_norm_back_f32ILi32EEvPKfS1_Pfif.private_seg_size, 0
	.set _ZL17rms_norm_back_f32ILi32EEvPKfS1_Pfif.uses_vcc, 1
	.set _ZL17rms_norm_back_f32ILi32EEvPKfS1_Pfif.uses_flat_scratch, 0
	.set _ZL17rms_norm_back_f32ILi32EEvPKfS1_Pfif.has_dyn_sized_stack, 0
	.set _ZL17rms_norm_back_f32ILi32EEvPKfS1_Pfif.has_recursion, 0
	.set _ZL17rms_norm_back_f32ILi32EEvPKfS1_Pfif.has_indirect_call, 0
	.section	.AMDGPU.csdata,"",@progbits
; Kernel info:
; codeLenInByte = 860
; TotalNumSgprs: 20
; NumVgprs: 15
; ScratchSize: 0
; MemoryBound: 0
; FloatMode: 240
; IeeeMode: 1
; LDSByteSize: 0 bytes/workgroup (compile time only)
; SGPRBlocks: 2
; VGPRBlocks: 3
; NumSGPRsForWavesPerEU: 20
; NumVGPRsForWavesPerEU: 15
; Occupancy: 10
; WaveLimiterHint : 0
; COMPUTE_PGM_RSRC2:SCRATCH_EN: 0
; COMPUTE_PGM_RSRC2:USER_SGPR: 6
; COMPUTE_PGM_RSRC2:TRAP_HANDLER: 0
; COMPUTE_PGM_RSRC2:TGID_X_EN: 1
; COMPUTE_PGM_RSRC2:TGID_Y_EN: 0
; COMPUTE_PGM_RSRC2:TGID_Z_EN: 0
; COMPUTE_PGM_RSRC2:TIDIG_COMP_CNT: 1
	.section	.text._ZL17rms_norm_back_f32ILi1024EEvPKfS1_Pfif,"axG",@progbits,_ZL17rms_norm_back_f32ILi1024EEvPKfS1_Pfif,comdat
	.globl	_ZL17rms_norm_back_f32ILi1024EEvPKfS1_Pfif ; -- Begin function _ZL17rms_norm_back_f32ILi1024EEvPKfS1_Pfif
	.p2align	8
	.type	_ZL17rms_norm_back_f32ILi1024EEvPKfS1_Pfif,@function
_ZL17rms_norm_back_f32ILi1024EEvPKfS1_Pfif: ; @_ZL17rms_norm_back_f32ILi1024EEvPKfS1_Pfif
; %bb.0:
	s_load_dword s0, s[4:5], 0x2c
	s_load_dwordx8 s[8:15], s[4:5], 0x0
	v_mov_b32_e32 v8, 0
	v_lshlrev_b32_e32 v5, 2, v0
	v_mov_b32_e32 v7, 0
	s_waitcnt lgkmcnt(0)
	s_lshr_b32 s0, s0, 16
	s_mul_i32 s6, s6, s0
	v_add_u32_e32 v6, s6, v1
	v_cmp_gt_i32_e64 s[0:1], s14, v0
	s_and_saveexec_b64 s[4:5], s[0:1]
	s_cbranch_execz .LBB11_4
; %bb.1:
	v_mad_i64_i32 v[1:2], s[2:3], s14, v6, 0
	v_mov_b32_e32 v7, s9
	v_mov_b32_e32 v8, 0
	v_lshlrev_b64 v[1:2], 2, v[1:2]
	s_mov_b64 s[6:7], 0
	v_add_co_u32_e32 v3, vcc, v1, v5
	v_addc_co_u32_e32 v4, vcc, 0, v2, vcc
	v_mov_b32_e32 v2, s11
	v_add_co_u32_e32 v1, vcc, s10, v3
	v_addc_co_u32_e32 v2, vcc, v2, v4, vcc
	v_add_co_u32_e32 v3, vcc, s8, v3
	v_addc_co_u32_e32 v4, vcc, v7, v4, vcc
	v_mov_b32_e32 v7, 0
	v_mov_b32_e32 v9, v0
.LBB11_2:                               ; =>This Inner Loop Header: Depth=1
	global_load_dword v10, v[1:2], off
	global_load_dword v11, v[3:4], off
	v_add_co_u32_e32 v1, vcc, 0x1000, v1
	v_add_u32_e32 v9, 0x400, v9
	v_addc_co_u32_e32 v2, vcc, 0, v2, vcc
	v_add_co_u32_e32 v3, vcc, 0x1000, v3
	v_cmp_le_i32_e64 s[2:3], s14, v9
	v_addc_co_u32_e32 v4, vcc, 0, v4, vcc
	s_or_b64 s[6:7], s[2:3], s[6:7]
	s_waitcnt vmcnt(1)
	v_fmac_f32_e32 v8, v10, v10
	s_waitcnt vmcnt(0)
	v_fmac_f32_e32 v7, v10, v11
	s_andn2_b64 exec, exec, s[6:7]
	s_cbranch_execnz .LBB11_2
; %bb.3:
	s_or_b64 exec, exec, s[6:7]
.LBB11_4:
	s_or_b64 exec, exec, s[4:5]
	v_mbcnt_lo_u32_b32 v1, -1, 0
	v_mbcnt_hi_u32_b32 v9, -1, v1
	v_and_b32_e32 v1, 0x60, v9
	v_add_u32_e32 v10, 32, v1
	v_xor_b32_e32 v1, 16, v9
	v_cmp_lt_i32_e32 vcc, v1, v10
	v_cndmask_b32_e32 v1, v9, v1, vcc
	v_lshlrev_b32_e32 v1, 2, v1
	ds_bpermute_b32 v2, v1, v8
	v_xor_b32_e32 v3, 8, v9
	v_cmp_lt_i32_e32 vcc, v3, v10
	ds_bpermute_b32 v11, v1, v7
	v_xor_b32_e32 v12, 2, v9
	s_waitcnt lgkmcnt(1)
	v_add_f32_e32 v4, v8, v2
	v_cndmask_b32_e32 v2, v9, v3, vcc
	v_lshlrev_b32_e32 v2, 2, v2
	ds_bpermute_b32 v3, v2, v4
	v_xor_b32_e32 v8, 4, v9
	v_cmp_lt_i32_e32 vcc, v8, v10
	s_waitcnt lgkmcnt(1)
	v_add_f32_e32 v7, v7, v11
	ds_bpermute_b32 v11, v2, v7
	s_waitcnt lgkmcnt(1)
	v_add_f32_e32 v4, v4, v3
	v_cndmask_b32_e32 v3, v9, v8, vcc
	v_lshlrev_b32_e32 v3, 2, v3
	ds_bpermute_b32 v8, v3, v4
	s_waitcnt lgkmcnt(1)
	v_add_f32_e32 v7, v7, v11
	v_cmp_lt_i32_e32 vcc, v12, v10
	ds_bpermute_b32 v11, v3, v7
	s_waitcnt lgkmcnt(1)
	v_add_f32_e32 v8, v4, v8
	v_cndmask_b32_e32 v4, v9, v12, vcc
	v_lshlrev_b32_e32 v4, 2, v4
	ds_bpermute_b32 v12, v4, v8
	s_waitcnt lgkmcnt(1)
	v_add_f32_e32 v11, v7, v11
	ds_bpermute_b32 v13, v4, v11
	s_waitcnt lgkmcnt(1)
	v_add_f32_e32 v8, v8, v12
	v_xor_b32_e32 v12, 1, v9
	v_cmp_lt_i32_e32 vcc, v12, v10
	v_cndmask_b32_e32 v7, v9, v12, vcc
	v_lshlrev_b32_e32 v7, 2, v7
	s_waitcnt lgkmcnt(0)
	v_add_f32_e32 v11, v11, v13
	ds_bpermute_b32 v10, v7, v8
	ds_bpermute_b32 v12, v7, v11
	v_and_b32_e32 v9, 31, v0
	v_cmp_eq_u32_e32 vcc, 0, v9
	s_and_saveexec_b64 s[2:3], vcc
	s_cbranch_execz .LBB11_6
; %bb.5:
	v_lshrrev_b32_e32 v13, 3, v0
	s_waitcnt lgkmcnt(0)
	v_add_f32_e32 v11, v11, v12
	v_add_f32_e32 v8, v8, v10
	ds_write2_b32 v13, v11, v8 offset1:32
.LBB11_6:
	s_or_b64 exec, exec, s[2:3]
	v_lshlrev_b32_e32 v8, 2, v9
	s_waitcnt lgkmcnt(0)
	s_barrier
	ds_read2_b32 v[8:9], v8 offset1:32
	s_waitcnt lgkmcnt(0)
	ds_bpermute_b32 v10, v1, v9
	ds_bpermute_b32 v1, v1, v8
	s_waitcnt lgkmcnt(1)
	v_add_f32_e32 v9, v9, v10
	s_waitcnt lgkmcnt(0)
	v_add_f32_e32 v1, v8, v1
	ds_bpermute_b32 v8, v2, v9
	ds_bpermute_b32 v2, v2, v1
	s_waitcnt lgkmcnt(1)
	v_add_f32_e32 v8, v9, v8
	s_waitcnt lgkmcnt(0)
	v_add_f32_e32 v1, v1, v2
	;; [unrolled: 6-line block ×4, first 2 shown]
	ds_bpermute_b32 v4, v7, v3
	ds_bpermute_b32 v2, v7, v1
	s_and_saveexec_b64 s[2:3], s[0:1]
	s_cbranch_execz .LBB11_9
; %bb.7:
	v_cvt_f32_i32_e32 v7, s14
	s_waitcnt lgkmcnt(1)
	v_add_f32_e32 v8, v3, v4
	s_waitcnt lgkmcnt(0)
	v_add_f32_e32 v1, v1, v2
	v_mov_b32_e32 v12, s13
	v_div_scale_f32 v3, s[0:1], v7, v7, v8
	v_div_scale_f32 v4, vcc, v8, v7, v8
	s_mov_b32 s0, 0x800000
	s_mov_b64 s[2:3], 0
	v_rcp_f32_e32 v9, v3
	v_fma_f32 v10, -v3, v9, 1.0
	v_fmac_f32_e32 v9, v10, v9
	v_mul_f32_e32 v10, v4, v9
	v_fma_f32 v11, -v3, v10, v4
	v_fmac_f32_e32 v10, v11, v9
	v_fma_f32 v3, -v3, v10, v4
	v_div_fmas_f32 v3, v3, v9, v10
	v_mov_b32_e32 v11, s11
	v_div_fixup_f32 v3, v3, v7, v8
	v_add_f32_e32 v3, s15, v3
	v_mul_f32_e32 v4, 0x4b800000, v3
	v_cmp_gt_f32_e32 vcc, s0, v3
	v_cndmask_b32_e32 v3, v3, v4, vcc
	v_rsq_f32_e32 v3, v3
	v_fmac_f32_e32 v8, s15, v7
	v_mul_f32_e32 v2, 0x45800000, v3
	v_cndmask_b32_e32 v7, v3, v2, vcc
	v_mul_f32_e64 v9, v1, -v7
	v_div_scale_f32 v3, s[0:1], v8, v8, v9
	v_div_scale_f32 v4, vcc, v9, v8, v9
	v_mad_i64_i32 v[1:2], s[0:1], s14, v6, 0
	v_mov_b32_e32 v6, s9
	v_lshlrev_b64 v[1:2], 2, v[1:2]
	v_rcp_f32_e32 v10, v3
	v_fma_f32 v13, -v3, v10, 1.0
	v_fmac_f32_e32 v10, v13, v10
	v_mul_f32_e32 v13, v4, v10
	v_fma_f32 v14, -v3, v13, v4
	v_fmac_f32_e32 v13, v14, v10
	v_fma_f32 v3, -v3, v13, v4
	v_div_fmas_f32 v10, v3, v10, v13
	v_add_co_u32_e32 v5, vcc, v1, v5
	v_addc_co_u32_e32 v13, vcc, 0, v2, vcc
	v_add_co_u32_e32 v1, vcc, s8, v5
	v_addc_co_u32_e32 v2, vcc, v6, v13, vcc
	;; [unrolled: 2-line block ×4, first 2 shown]
	v_div_fixup_f32 v8, v10, v8, v9
.LBB11_8:                               ; =>This Inner Loop Header: Depth=1
	global_load_dword v9, v[3:4], off
	global_load_dword v10, v[1:2], off
	v_add_co_u32_e32 v1, vcc, 0x1000, v1
	v_addc_co_u32_e32 v2, vcc, 0, v2, vcc
	v_add_co_u32_e32 v3, vcc, 0x1000, v3
	v_add_u32_e32 v0, 0x400, v0
	v_addc_co_u32_e32 v4, vcc, 0, v4, vcc
	v_cmp_le_i32_e64 s[0:1], s14, v0
	s_or_b64 s[2:3], s[0:1], s[2:3]
	s_waitcnt vmcnt(1)
	v_mul_f32_e32 v9, v8, v9
	s_waitcnt vmcnt(0)
	v_fmac_f32_e32 v9, v7, v10
	global_store_dword v[5:6], v9, off
	v_add_co_u32_e32 v5, vcc, 0x1000, v5
	v_addc_co_u32_e32 v6, vcc, 0, v6, vcc
	s_andn2_b64 exec, exec, s[2:3]
	s_cbranch_execnz .LBB11_8
.LBB11_9:
	s_endpgm
	.section	.rodata,"a",@progbits
	.p2align	6, 0x0
	.amdhsa_kernel _ZL17rms_norm_back_f32ILi1024EEvPKfS1_Pfif
		.amdhsa_group_segment_fixed_size 256
		.amdhsa_private_segment_fixed_size 0
		.amdhsa_kernarg_size 288
		.amdhsa_user_sgpr_count 6
		.amdhsa_user_sgpr_private_segment_buffer 1
		.amdhsa_user_sgpr_dispatch_ptr 0
		.amdhsa_user_sgpr_queue_ptr 0
		.amdhsa_user_sgpr_kernarg_segment_ptr 1
		.amdhsa_user_sgpr_dispatch_id 0
		.amdhsa_user_sgpr_flat_scratch_init 0
		.amdhsa_user_sgpr_private_segment_size 0
		.amdhsa_uses_dynamic_stack 0
		.amdhsa_system_sgpr_private_segment_wavefront_offset 0
		.amdhsa_system_sgpr_workgroup_id_x 1
		.amdhsa_system_sgpr_workgroup_id_y 0
		.amdhsa_system_sgpr_workgroup_id_z 0
		.amdhsa_system_sgpr_workgroup_info 0
		.amdhsa_system_vgpr_workitem_id 1
		.amdhsa_next_free_vgpr 15
		.amdhsa_next_free_sgpr 16
		.amdhsa_reserve_vcc 1
		.amdhsa_reserve_flat_scratch 0
		.amdhsa_float_round_mode_32 0
		.amdhsa_float_round_mode_16_64 0
		.amdhsa_float_denorm_mode_32 3
		.amdhsa_float_denorm_mode_16_64 3
		.amdhsa_dx10_clamp 1
		.amdhsa_ieee_mode 1
		.amdhsa_fp16_overflow 0
		.amdhsa_exception_fp_ieee_invalid_op 0
		.amdhsa_exception_fp_denorm_src 0
		.amdhsa_exception_fp_ieee_div_zero 0
		.amdhsa_exception_fp_ieee_overflow 0
		.amdhsa_exception_fp_ieee_underflow 0
		.amdhsa_exception_fp_ieee_inexact 0
		.amdhsa_exception_int_div_zero 0
	.end_amdhsa_kernel
	.section	.text._ZL17rms_norm_back_f32ILi1024EEvPKfS1_Pfif,"axG",@progbits,_ZL17rms_norm_back_f32ILi1024EEvPKfS1_Pfif,comdat
.Lfunc_end11:
	.size	_ZL17rms_norm_back_f32ILi1024EEvPKfS1_Pfif, .Lfunc_end11-_ZL17rms_norm_back_f32ILi1024EEvPKfS1_Pfif
                                        ; -- End function
	.set _ZL17rms_norm_back_f32ILi1024EEvPKfS1_Pfif.num_vgpr, 15
	.set _ZL17rms_norm_back_f32ILi1024EEvPKfS1_Pfif.num_agpr, 0
	.set _ZL17rms_norm_back_f32ILi1024EEvPKfS1_Pfif.numbered_sgpr, 16
	.set _ZL17rms_norm_back_f32ILi1024EEvPKfS1_Pfif.num_named_barrier, 0
	.set _ZL17rms_norm_back_f32ILi1024EEvPKfS1_Pfif.private_seg_size, 0
	.set _ZL17rms_norm_back_f32ILi1024EEvPKfS1_Pfif.uses_vcc, 1
	.set _ZL17rms_norm_back_f32ILi1024EEvPKfS1_Pfif.uses_flat_scratch, 0
	.set _ZL17rms_norm_back_f32ILi1024EEvPKfS1_Pfif.has_dyn_sized_stack, 0
	.set _ZL17rms_norm_back_f32ILi1024EEvPKfS1_Pfif.has_recursion, 0
	.set _ZL17rms_norm_back_f32ILi1024EEvPKfS1_Pfif.has_indirect_call, 0
	.section	.AMDGPU.csdata,"",@progbits
; Kernel info:
; codeLenInByte = 1080
; TotalNumSgprs: 20
; NumVgprs: 15
; ScratchSize: 0
; MemoryBound: 0
; FloatMode: 240
; IeeeMode: 1
; LDSByteSize: 256 bytes/workgroup (compile time only)
; SGPRBlocks: 2
; VGPRBlocks: 3
; NumSGPRsForWavesPerEU: 20
; NumVGPRsForWavesPerEU: 15
; Occupancy: 10
; WaveLimiterHint : 0
; COMPUTE_PGM_RSRC2:SCRATCH_EN: 0
; COMPUTE_PGM_RSRC2:USER_SGPR: 6
; COMPUTE_PGM_RSRC2:TRAP_HANDLER: 0
; COMPUTE_PGM_RSRC2:TGID_X_EN: 1
; COMPUTE_PGM_RSRC2:TGID_Y_EN: 0
; COMPUTE_PGM_RSRC2:TGID_Z_EN: 0
; COMPUTE_PGM_RSRC2:TIDIG_COMP_CNT: 1
	.section	.text._ZL11l2_norm_f32ILi32EEvPKfPfilllf,"axG",@progbits,_ZL11l2_norm_f32ILi32EEvPKfPfilllf,comdat
	.globl	_ZL11l2_norm_f32ILi32EEvPKfPfilllf ; -- Begin function _ZL11l2_norm_f32ILi32EEvPKfPfilllf
	.p2align	8
	.type	_ZL11l2_norm_f32ILi32EEvPKfPfilllf,@function
_ZL11l2_norm_f32ILi32EEvPKfPfilllf:     ; @_ZL11l2_norm_f32ILi32EEvPKfPfilllf
; %bb.0:
	s_load_dwordx4 s[12:15], s[4:5], 0x0
	s_load_dword s9, s[4:5], 0x10
	s_load_dwordx4 s[20:23], s[4:5], 0x18
	s_load_dwordx2 s[10:11], s[4:5], 0x28
	s_load_dwordx2 s[2:3], s[4:5], 0x38
	s_ashr_i32 s16, s8, 31
	s_ashr_i32 s17, s7, 31
	;; [unrolled: 1-line block ×3, first 2 shown]
	s_waitcnt lgkmcnt(0)
	v_cmp_gt_i32_e64 s[0:1], s9, v0
	v_mov_b32_e32 v4, 0
	s_mul_i32 s28, s10, s16
	s_mul_hi_u32 s31, s10, s8
	s_mul_i32 s33, s11, s8
	s_mul_i32 s18, s10, s8
	s_mul_i32 s27, s22, s17
	s_mul_hi_u32 s29, s22, s7
	s_mul_i32 s30, s23, s7
	s_mul_i32 s16, s22, s7
	s_mul_i32 s24, s20, s19
	s_mul_hi_u32 s25, s20, s6
	s_mul_i32 s26, s21, s6
	s_mul_i32 s10, s20, s6
	v_lshlrev_b32_e32 v3, 2, v0
	s_and_saveexec_b64 s[20:21], s[0:1]
	s_cbranch_execz .LBB12_4
; %bb.1:
	s_add_i32 s11, s31, s28
	s_add_i32 s19, s11, s33
	;; [unrolled: 1-line block ×4, first 2 shown]
	s_lshl_b64 s[22:23], s[18:19], 2
	s_lshl_b64 s[34:35], s[16:17], 2
	s_add_u32 s17, s22, s34
	s_addc_u32 s19, s23, s35
	s_add_i32 s11, s25, s24
	s_add_i32 s11, s11, s26
	s_lshl_b64 s[22:23], s[10:11], 2
	s_add_u32 s11, s17, s22
	s_addc_u32 s17, s19, s23
	s_add_u32 s11, s12, s11
	s_addc_u32 s17, s13, s17
	v_mov_b32_e32 v2, s17
	v_add_co_u32_e32 v1, vcc, s11, v3
	v_mov_b32_e32 v4, 0
	v_addc_co_u32_e32 v2, vcc, 0, v2, vcc
	s_mov_b64 s[22:23], 0
	v_mov_b32_e32 v5, v0
.LBB12_2:                               ; =>This Inner Loop Header: Depth=1
	global_load_dword v6, v[1:2], off
	v_add_co_u32_e32 v1, vcc, 0x80, v1
	v_add_u32_e32 v5, 32, v5
	v_addc_co_u32_e32 v2, vcc, 0, v2, vcc
	v_cmp_le_i32_e32 vcc, s9, v5
	s_or_b64 s[22:23], vcc, s[22:23]
	s_waitcnt vmcnt(0)
	v_fmac_f32_e32 v4, v6, v6
	s_andn2_b64 exec, exec, s[22:23]
	s_cbranch_execnz .LBB12_2
; %bb.3:
	s_or_b64 exec, exec, s[22:23]
.LBB12_4:
	s_or_b64 exec, exec, s[20:21]
	v_mbcnt_lo_u32_b32 v1, -1, 0
	v_mbcnt_hi_u32_b32 v2, -1, v1
	v_and_b32_e32 v1, 0x60, v2
	v_add_u32_e32 v5, 32, v1
	v_xor_b32_e32 v1, 16, v2
	v_cmp_lt_i32_e32 vcc, v1, v5
	v_cndmask_b32_e32 v1, v2, v1, vcc
	v_lshlrev_b32_e32 v1, 2, v1
	ds_bpermute_b32 v1, v1, v4
	v_xor_b32_e32 v6, 8, v2
	v_cmp_lt_i32_e32 vcc, v6, v5
	s_waitcnt lgkmcnt(0)
	v_add_f32_e32 v1, v4, v1
	v_cndmask_b32_e32 v4, v2, v6, vcc
	v_lshlrev_b32_e32 v4, 2, v4
	ds_bpermute_b32 v4, v4, v1
	v_xor_b32_e32 v6, 4, v2
	v_cmp_lt_i32_e32 vcc, v6, v5
	s_waitcnt lgkmcnt(0)
	v_add_f32_e32 v1, v1, v4
	;; [unrolled: 7-line block ×3, first 2 shown]
	v_cndmask_b32_e32 v4, v2, v6, vcc
	v_lshlrev_b32_e32 v4, 2, v4
	ds_bpermute_b32 v4, v4, v1
	v_xor_b32_e32 v6, 1, v2
	v_cmp_lt_i32_e32 vcc, v6, v5
	v_cndmask_b32_e32 v2, v2, v6, vcc
	v_lshlrev_b32_e32 v2, 2, v2
	s_waitcnt lgkmcnt(0)
	v_add_f32_e32 v1, v1, v4
	ds_bpermute_b32 v2, v2, v1
	s_and_saveexec_b64 s[20:21], s[0:1]
	s_cbranch_execz .LBB12_7
; %bb.5:
	s_load_dword s0, s[4:5], 0x30
	s_mul_i32 s3, s3, s8
	s_waitcnt lgkmcnt(0)
	v_add_f32_e32 v1, v1, v2
	s_add_i32 s4, s29, s27
	s_mov_b32 s1, 0x800000
	v_mul_f32_e64 v2, s0, s0
	s_add_i32 s0, s3, s7
	s_mul_i32 s0, s0, s2
	s_add_i32 s0, s0, s6
	s_add_i32 s2, s31, s28
	v_max_f32_e32 v1, v1, v2
	s_mul_i32 s0, s0, s9
	s_add_i32 s19, s2, s33
	s_add_i32 s17, s4, s30
	v_cmp_gt_f32_e32 vcc, s1, v1
	s_ashr_i32 s1, s0, 31
	s_lshl_b64 s[2:3], s[18:19], 2
	s_lshl_b64 s[4:5], s[16:17], 2
	s_add_u32 s4, s2, s4
	v_mul_f32_e32 v2, 0x4b800000, v1
	s_addc_u32 s5, s3, s5
	s_add_i32 s2, s25, s24
	v_cndmask_b32_e32 v1, v1, v2, vcc
	s_add_i32 s11, s2, s26
	v_rsq_f32_e32 v1, v1
	s_lshl_b64 s[2:3], s[10:11], 2
	s_add_u32 s2, s4, s2
	s_addc_u32 s3, s5, s3
	s_add_u32 s2, s12, s2
	v_mul_f32_e32 v2, 0x45800000, v1
	s_addc_u32 s3, s13, s3
	s_lshl_b64 s[0:1], s[0:1], 2
	v_cndmask_b32_e32 v5, v1, v2, vcc
	v_mov_b32_e32 v2, s3
	v_add_co_u32_e32 v1, vcc, s2, v3
	s_add_u32 s0, s14, s0
	v_addc_co_u32_e32 v2, vcc, 0, v2, vcc
	s_addc_u32 s1, s15, s1
	v_mov_b32_e32 v4, s1
	v_add_co_u32_e32 v3, vcc, s0, v3
	v_addc_co_u32_e32 v4, vcc, 0, v4, vcc
	s_mov_b64 s[0:1], 0
.LBB12_6:                               ; =>This Inner Loop Header: Depth=1
	global_load_dword v6, v[1:2], off
	v_add_co_u32_e32 v1, vcc, 0x80, v1
	v_add_u32_e32 v0, 32, v0
	v_addc_co_u32_e32 v2, vcc, 0, v2, vcc
	v_cmp_le_i32_e32 vcc, s9, v0
	s_or_b64 s[0:1], vcc, s[0:1]
	s_waitcnt vmcnt(0)
	v_mul_f32_e32 v6, v5, v6
	global_store_dword v[3:4], v6, off
	v_add_co_u32_e32 v3, vcc, 0x80, v3
	v_addc_co_u32_e32 v4, vcc, 0, v4, vcc
	s_andn2_b64 exec, exec, s[0:1]
	s_cbranch_execnz .LBB12_6
.LBB12_7:
	s_endpgm
	.section	.rodata,"a",@progbits
	.p2align	6, 0x0
	.amdhsa_kernel _ZL11l2_norm_f32ILi32EEvPKfPfilllf
		.amdhsa_group_segment_fixed_size 0
		.amdhsa_private_segment_fixed_size 0
		.amdhsa_kernarg_size 312
		.amdhsa_user_sgpr_count 6
		.amdhsa_user_sgpr_private_segment_buffer 1
		.amdhsa_user_sgpr_dispatch_ptr 0
		.amdhsa_user_sgpr_queue_ptr 0
		.amdhsa_user_sgpr_kernarg_segment_ptr 1
		.amdhsa_user_sgpr_dispatch_id 0
		.amdhsa_user_sgpr_flat_scratch_init 0
		.amdhsa_user_sgpr_private_segment_size 0
		.amdhsa_uses_dynamic_stack 0
		.amdhsa_system_sgpr_private_segment_wavefront_offset 0
		.amdhsa_system_sgpr_workgroup_id_x 1
		.amdhsa_system_sgpr_workgroup_id_y 1
		.amdhsa_system_sgpr_workgroup_id_z 1
		.amdhsa_system_sgpr_workgroup_info 0
		.amdhsa_system_vgpr_workitem_id 0
		.amdhsa_next_free_vgpr 7
		.amdhsa_next_free_sgpr 36
		.amdhsa_reserve_vcc 1
		.amdhsa_reserve_flat_scratch 0
		.amdhsa_float_round_mode_32 0
		.amdhsa_float_round_mode_16_64 0
		.amdhsa_float_denorm_mode_32 3
		.amdhsa_float_denorm_mode_16_64 3
		.amdhsa_dx10_clamp 1
		.amdhsa_ieee_mode 1
		.amdhsa_fp16_overflow 0
		.amdhsa_exception_fp_ieee_invalid_op 0
		.amdhsa_exception_fp_denorm_src 0
		.amdhsa_exception_fp_ieee_div_zero 0
		.amdhsa_exception_fp_ieee_overflow 0
		.amdhsa_exception_fp_ieee_underflow 0
		.amdhsa_exception_fp_ieee_inexact 0
		.amdhsa_exception_int_div_zero 0
	.end_amdhsa_kernel
	.section	.text._ZL11l2_norm_f32ILi32EEvPKfPfilllf,"axG",@progbits,_ZL11l2_norm_f32ILi32EEvPKfPfilllf,comdat
.Lfunc_end12:
	.size	_ZL11l2_norm_f32ILi32EEvPKfPfilllf, .Lfunc_end12-_ZL11l2_norm_f32ILi32EEvPKfPfilllf
                                        ; -- End function
	.set _ZL11l2_norm_f32ILi32EEvPKfPfilllf.num_vgpr, 7
	.set _ZL11l2_norm_f32ILi32EEvPKfPfilllf.num_agpr, 0
	.set _ZL11l2_norm_f32ILi32EEvPKfPfilllf.numbered_sgpr, 36
	.set _ZL11l2_norm_f32ILi32EEvPKfPfilllf.num_named_barrier, 0
	.set _ZL11l2_norm_f32ILi32EEvPKfPfilllf.private_seg_size, 0
	.set _ZL11l2_norm_f32ILi32EEvPKfPfilllf.uses_vcc, 1
	.set _ZL11l2_norm_f32ILi32EEvPKfPfilllf.uses_flat_scratch, 0
	.set _ZL11l2_norm_f32ILi32EEvPKfPfilllf.has_dyn_sized_stack, 0
	.set _ZL11l2_norm_f32ILi32EEvPKfPfilllf.has_recursion, 0
	.set _ZL11l2_norm_f32ILi32EEvPKfPfilllf.has_indirect_call, 0
	.section	.AMDGPU.csdata,"",@progbits
; Kernel info:
; codeLenInByte = 720
; TotalNumSgprs: 40
; NumVgprs: 7
; ScratchSize: 0
; MemoryBound: 0
; FloatMode: 240
; IeeeMode: 1
; LDSByteSize: 0 bytes/workgroup (compile time only)
; SGPRBlocks: 4
; VGPRBlocks: 1
; NumSGPRsForWavesPerEU: 40
; NumVGPRsForWavesPerEU: 7
; Occupancy: 10
; WaveLimiterHint : 0
; COMPUTE_PGM_RSRC2:SCRATCH_EN: 0
; COMPUTE_PGM_RSRC2:USER_SGPR: 6
; COMPUTE_PGM_RSRC2:TRAP_HANDLER: 0
; COMPUTE_PGM_RSRC2:TGID_X_EN: 1
; COMPUTE_PGM_RSRC2:TGID_Y_EN: 1
; COMPUTE_PGM_RSRC2:TGID_Z_EN: 1
; COMPUTE_PGM_RSRC2:TIDIG_COMP_CNT: 0
	.section	.text._ZL11l2_norm_f32ILi1024EEvPKfPfilllf,"axG",@progbits,_ZL11l2_norm_f32ILi1024EEvPKfPfilllf,comdat
	.globl	_ZL11l2_norm_f32ILi1024EEvPKfPfilllf ; -- Begin function _ZL11l2_norm_f32ILi1024EEvPKfPfilllf
	.p2align	8
	.type	_ZL11l2_norm_f32ILi1024EEvPKfPfilllf,@function
_ZL11l2_norm_f32ILi1024EEvPKfPfilllf:   ; @_ZL11l2_norm_f32ILi1024EEvPKfPfilllf
; %bb.0:
	s_load_dwordx4 s[12:15], s[4:5], 0x0
	s_load_dword s9, s[4:5], 0x10
	s_load_dwordx4 s[20:23], s[4:5], 0x18
	s_load_dwordx2 s[10:11], s[4:5], 0x28
	s_load_dwordx2 s[2:3], s[4:5], 0x38
	s_ashr_i32 s16, s8, 31
	s_ashr_i32 s17, s7, 31
	s_ashr_i32 s19, s6, 31
	s_waitcnt lgkmcnt(0)
	v_cmp_gt_i32_e64 s[0:1], s9, v0
	v_mov_b32_e32 v4, 0
	s_mul_i32 s28, s10, s16
	s_mul_hi_u32 s31, s10, s8
	s_mul_i32 s33, s11, s8
	s_mul_i32 s18, s10, s8
	s_mul_i32 s27, s22, s17
	s_mul_hi_u32 s29, s22, s7
	s_mul_i32 s30, s23, s7
	s_mul_i32 s16, s22, s7
	;; [unrolled: 4-line block ×3, first 2 shown]
	v_lshlrev_b32_e32 v3, 2, v0
	s_and_saveexec_b64 s[20:21], s[0:1]
	s_cbranch_execz .LBB13_4
; %bb.1:
	s_add_i32 s11, s31, s28
	s_add_i32 s19, s11, s33
	s_add_i32 s11, s29, s27
	s_add_i32 s17, s11, s30
	s_lshl_b64 s[22:23], s[18:19], 2
	s_lshl_b64 s[34:35], s[16:17], 2
	s_add_u32 s17, s22, s34
	s_addc_u32 s19, s23, s35
	s_add_i32 s11, s25, s24
	s_add_i32 s11, s11, s26
	s_lshl_b64 s[22:23], s[10:11], 2
	s_add_u32 s11, s17, s22
	s_addc_u32 s17, s19, s23
	s_add_u32 s11, s12, s11
	s_addc_u32 s17, s13, s17
	v_mov_b32_e32 v2, s17
	v_add_co_u32_e32 v1, vcc, s11, v3
	v_mov_b32_e32 v4, 0
	v_addc_co_u32_e32 v2, vcc, 0, v2, vcc
	s_mov_b64 s[22:23], 0
	v_mov_b32_e32 v5, v0
.LBB13_2:                               ; =>This Inner Loop Header: Depth=1
	global_load_dword v6, v[1:2], off
	v_add_co_u32_e32 v1, vcc, 0x1000, v1
	v_add_u32_e32 v5, 0x400, v5
	v_addc_co_u32_e32 v2, vcc, 0, v2, vcc
	v_cmp_le_i32_e32 vcc, s9, v5
	s_or_b64 s[22:23], vcc, s[22:23]
	s_waitcnt vmcnt(0)
	v_fmac_f32_e32 v4, v6, v6
	s_andn2_b64 exec, exec, s[22:23]
	s_cbranch_execnz .LBB13_2
; %bb.3:
	s_or_b64 exec, exec, s[22:23]
.LBB13_4:
	s_or_b64 exec, exec, s[20:21]
	v_mbcnt_lo_u32_b32 v1, -1, 0
	v_mbcnt_hi_u32_b32 v6, -1, v1
	v_and_b32_e32 v1, 0x60, v6
	v_add_u32_e32 v7, 32, v1
	v_xor_b32_e32 v1, 16, v6
	v_cmp_lt_i32_e32 vcc, v1, v7
	v_cndmask_b32_e32 v1, v6, v1, vcc
	v_lshlrev_b32_e32 v1, 2, v1
	ds_bpermute_b32 v2, v1, v4
	v_xor_b32_e32 v5, 8, v6
	v_cmp_lt_i32_e32 vcc, v5, v7
	v_xor_b32_e32 v8, 4, v6
	v_xor_b32_e32 v9, 2, v6
	s_waitcnt lgkmcnt(0)
	v_add_f32_e32 v4, v4, v2
	v_cndmask_b32_e32 v2, v6, v5, vcc
	v_lshlrev_b32_e32 v2, 2, v2
	ds_bpermute_b32 v5, v2, v4
	v_cmp_lt_i32_e32 vcc, v8, v7
	v_xor_b32_e32 v10, 1, v6
	s_waitcnt lgkmcnt(0)
	v_add_f32_e32 v5, v4, v5
	v_cndmask_b32_e32 v4, v6, v8, vcc
	v_lshlrev_b32_e32 v4, 2, v4
	ds_bpermute_b32 v8, v4, v5
	v_cmp_lt_i32_e32 vcc, v9, v7
	s_waitcnt lgkmcnt(0)
	v_add_f32_e32 v8, v5, v8
	v_cndmask_b32_e32 v5, v6, v9, vcc
	v_lshlrev_b32_e32 v5, 2, v5
	ds_bpermute_b32 v9, v5, v8
	v_cmp_lt_i32_e32 vcc, v10, v7
	v_cndmask_b32_e32 v6, v6, v10, vcc
	v_lshlrev_b32_e32 v6, 2, v6
	v_and_b32_e32 v7, 31, v0
	s_waitcnt lgkmcnt(0)
	v_add_f32_e32 v8, v8, v9
	ds_bpermute_b32 v9, v6, v8
	v_cmp_eq_u32_e32 vcc, 0, v7
	s_and_saveexec_b64 s[20:21], vcc
	s_cbranch_execz .LBB13_6
; %bb.5:
	s_waitcnt lgkmcnt(0)
	v_add_f32_e32 v8, v8, v9
	v_lshrrev_b32_e32 v9, 3, v0
	v_add_u32_e32 v9, 0, v9
	ds_write_b32 v9, v8
.LBB13_6:
	s_or_b64 exec, exec, s[20:21]
	v_lshl_add_u32 v7, v7, 2, 0
	s_waitcnt lgkmcnt(0)
	s_barrier
	ds_read_b32 v7, v7
	s_waitcnt lgkmcnt(0)
	ds_bpermute_b32 v1, v1, v7
	s_waitcnt lgkmcnt(0)
	v_add_f32_e32 v1, v7, v1
	ds_bpermute_b32 v2, v2, v1
	s_waitcnt lgkmcnt(0)
	v_add_f32_e32 v1, v1, v2
	;; [unrolled: 3-line block ×4, first 2 shown]
	ds_bpermute_b32 v2, v6, v1
	s_and_saveexec_b64 s[20:21], s[0:1]
	s_cbranch_execz .LBB13_9
; %bb.7:
	s_load_dword s0, s[4:5], 0x30
	s_mul_i32 s3, s3, s8
	s_waitcnt lgkmcnt(0)
	v_add_f32_e32 v1, v1, v2
	s_add_i32 s4, s29, s27
	s_mov_b32 s1, 0x800000
	v_mul_f32_e64 v2, s0, s0
	s_add_i32 s0, s3, s7
	s_mul_i32 s0, s0, s2
	s_add_i32 s0, s0, s6
	s_add_i32 s2, s31, s28
	v_max_f32_e32 v1, v1, v2
	s_mul_i32 s0, s0, s9
	s_add_i32 s19, s2, s33
	s_add_i32 s17, s4, s30
	v_cmp_gt_f32_e32 vcc, s1, v1
	s_ashr_i32 s1, s0, 31
	s_lshl_b64 s[2:3], s[18:19], 2
	s_lshl_b64 s[4:5], s[16:17], 2
	s_add_u32 s4, s2, s4
	v_mul_f32_e32 v2, 0x4b800000, v1
	s_addc_u32 s5, s3, s5
	s_add_i32 s2, s25, s24
	v_cndmask_b32_e32 v1, v1, v2, vcc
	s_add_i32 s11, s2, s26
	v_rsq_f32_e32 v1, v1
	s_lshl_b64 s[2:3], s[10:11], 2
	s_add_u32 s2, s4, s2
	s_addc_u32 s3, s5, s3
	s_add_u32 s2, s12, s2
	v_mul_f32_e32 v2, 0x45800000, v1
	s_addc_u32 s3, s13, s3
	s_lshl_b64 s[0:1], s[0:1], 2
	v_cndmask_b32_e32 v5, v1, v2, vcc
	v_mov_b32_e32 v2, s3
	v_add_co_u32_e32 v1, vcc, s2, v3
	s_add_u32 s0, s14, s0
	v_addc_co_u32_e32 v2, vcc, 0, v2, vcc
	s_addc_u32 s1, s15, s1
	v_mov_b32_e32 v4, s1
	v_add_co_u32_e32 v3, vcc, s0, v3
	v_addc_co_u32_e32 v4, vcc, 0, v4, vcc
	s_mov_b64 s[0:1], 0
.LBB13_8:                               ; =>This Inner Loop Header: Depth=1
	global_load_dword v6, v[1:2], off
	v_add_co_u32_e32 v1, vcc, 0x1000, v1
	v_add_u32_e32 v0, 0x400, v0
	v_addc_co_u32_e32 v2, vcc, 0, v2, vcc
	v_cmp_le_i32_e32 vcc, s9, v0
	s_or_b64 s[0:1], vcc, s[0:1]
	s_waitcnt vmcnt(0)
	v_mul_f32_e32 v6, v5, v6
	global_store_dword v[3:4], v6, off
	v_add_co_u32_e32 v3, vcc, 0x1000, v3
	v_addc_co_u32_e32 v4, vcc, 0, v4, vcc
	s_andn2_b64 exec, exec, s[0:1]
	s_cbranch_execnz .LBB13_8
.LBB13_9:
	s_endpgm
	.section	.rodata,"a",@progbits
	.p2align	6, 0x0
	.amdhsa_kernel _ZL11l2_norm_f32ILi1024EEvPKfPfilllf
		.amdhsa_group_segment_fixed_size 0
		.amdhsa_private_segment_fixed_size 0
		.amdhsa_kernarg_size 312
		.amdhsa_user_sgpr_count 6
		.amdhsa_user_sgpr_private_segment_buffer 1
		.amdhsa_user_sgpr_dispatch_ptr 0
		.amdhsa_user_sgpr_queue_ptr 0
		.amdhsa_user_sgpr_kernarg_segment_ptr 1
		.amdhsa_user_sgpr_dispatch_id 0
		.amdhsa_user_sgpr_flat_scratch_init 0
		.amdhsa_user_sgpr_private_segment_size 0
		.amdhsa_uses_dynamic_stack 0
		.amdhsa_system_sgpr_private_segment_wavefront_offset 0
		.amdhsa_system_sgpr_workgroup_id_x 1
		.amdhsa_system_sgpr_workgroup_id_y 1
		.amdhsa_system_sgpr_workgroup_id_z 1
		.amdhsa_system_sgpr_workgroup_info 0
		.amdhsa_system_vgpr_workitem_id 0
		.amdhsa_next_free_vgpr 11
		.amdhsa_next_free_sgpr 36
		.amdhsa_reserve_vcc 1
		.amdhsa_reserve_flat_scratch 0
		.amdhsa_float_round_mode_32 0
		.amdhsa_float_round_mode_16_64 0
		.amdhsa_float_denorm_mode_32 3
		.amdhsa_float_denorm_mode_16_64 3
		.amdhsa_dx10_clamp 1
		.amdhsa_ieee_mode 1
		.amdhsa_fp16_overflow 0
		.amdhsa_exception_fp_ieee_invalid_op 0
		.amdhsa_exception_fp_denorm_src 0
		.amdhsa_exception_fp_ieee_div_zero 0
		.amdhsa_exception_fp_ieee_overflow 0
		.amdhsa_exception_fp_ieee_underflow 0
		.amdhsa_exception_fp_ieee_inexact 0
		.amdhsa_exception_int_div_zero 0
	.end_amdhsa_kernel
	.section	.text._ZL11l2_norm_f32ILi1024EEvPKfPfilllf,"axG",@progbits,_ZL11l2_norm_f32ILi1024EEvPKfPfilllf,comdat
.Lfunc_end13:
	.size	_ZL11l2_norm_f32ILi1024EEvPKfPfilllf, .Lfunc_end13-_ZL11l2_norm_f32ILi1024EEvPKfPfilllf
                                        ; -- End function
	.set _ZL11l2_norm_f32ILi1024EEvPKfPfilllf.num_vgpr, 11
	.set _ZL11l2_norm_f32ILi1024EEvPKfPfilllf.num_agpr, 0
	.set _ZL11l2_norm_f32ILi1024EEvPKfPfilllf.numbered_sgpr, 36
	.set _ZL11l2_norm_f32ILi1024EEvPKfPfilllf.num_named_barrier, 0
	.set _ZL11l2_norm_f32ILi1024EEvPKfPfilllf.private_seg_size, 0
	.set _ZL11l2_norm_f32ILi1024EEvPKfPfilllf.uses_vcc, 1
	.set _ZL11l2_norm_f32ILi1024EEvPKfPfilllf.uses_flat_scratch, 0
	.set _ZL11l2_norm_f32ILi1024EEvPKfPfilllf.has_dyn_sized_stack, 0
	.set _ZL11l2_norm_f32ILi1024EEvPKfPfilllf.has_recursion, 0
	.set _ZL11l2_norm_f32ILi1024EEvPKfPfilllf.has_indirect_call, 0
	.section	.AMDGPU.csdata,"",@progbits
; Kernel info:
; codeLenInByte = 872
; TotalNumSgprs: 40
; NumVgprs: 11
; ScratchSize: 0
; MemoryBound: 0
; FloatMode: 240
; IeeeMode: 1
; LDSByteSize: 0 bytes/workgroup (compile time only)
; SGPRBlocks: 4
; VGPRBlocks: 2
; NumSGPRsForWavesPerEU: 40
; NumVGPRsForWavesPerEU: 11
; Occupancy: 10
; WaveLimiterHint : 0
; COMPUTE_PGM_RSRC2:SCRATCH_EN: 0
; COMPUTE_PGM_RSRC2:USER_SGPR: 6
; COMPUTE_PGM_RSRC2:TRAP_HANDLER: 0
; COMPUTE_PGM_RSRC2:TGID_X_EN: 1
; COMPUTE_PGM_RSRC2:TGID_Y_EN: 1
; COMPUTE_PGM_RSRC2:TGID_Z_EN: 1
; COMPUTE_PGM_RSRC2:TIDIG_COMP_CNT: 0
	.section	.AMDGPU.gpr_maximums,"",@progbits
	.set amdgpu.max_num_vgpr, 0
	.set amdgpu.max_num_agpr, 0
	.set amdgpu.max_num_sgpr, 0
	.section	.AMDGPU.csdata,"",@progbits
	.type	__hip_cuid_ac818920f7c70db0,@object ; @__hip_cuid_ac818920f7c70db0
	.section	.bss,"aw",@nobits
	.globl	__hip_cuid_ac818920f7c70db0
__hip_cuid_ac818920f7c70db0:
	.byte	0                               ; 0x0
	.size	__hip_cuid_ac818920f7c70db0, 1

	.ident	"AMD clang version 22.0.0git (https://github.com/RadeonOpenCompute/llvm-project roc-7.2.4 26084 f58b06dce1f9c15707c5f808fd002e18c2accf7e)"
	.section	".note.GNU-stack","",@progbits
	.addrsig
	.addrsig_sym __hip_cuid_ac818920f7c70db0
	.amdgpu_metadata
---
amdhsa.kernels:
  - .args:
      - .address_space:  global
        .offset:         0
        .size:           8
        .value_kind:     global_buffer
      - .address_space:  global
        .offset:         8
        .size:           8
        .value_kind:     global_buffer
      - .offset:         16
        .size:           4
        .value_kind:     by_value
      - .offset:         24
        .size:           8
        .value_kind:     by_value
      - .offset:         32
        .size:           8
        .value_kind:     by_value
      - .offset:         40
        .size:           8
        .value_kind:     by_value
      - .offset:         48
        .size:           4
        .value_kind:     by_value
      - .offset:         56
        .size:           4
        .value_kind:     hidden_block_count_x
      - .offset:         60
        .size:           4
        .value_kind:     hidden_block_count_y
      - .offset:         64
        .size:           4
        .value_kind:     hidden_block_count_z
      - .offset:         68
        .size:           2
        .value_kind:     hidden_group_size_x
      - .offset:         70
        .size:           2
        .value_kind:     hidden_group_size_y
      - .offset:         72
        .size:           2
        .value_kind:     hidden_group_size_z
      - .offset:         74
        .size:           2
        .value_kind:     hidden_remainder_x
      - .offset:         76
        .size:           2
        .value_kind:     hidden_remainder_y
      - .offset:         78
        .size:           2
        .value_kind:     hidden_remainder_z
      - .offset:         96
        .size:           8
        .value_kind:     hidden_global_offset_x
      - .offset:         104
        .size:           8
        .value_kind:     hidden_global_offset_y
      - .offset:         112
        .size:           8
        .value_kind:     hidden_global_offset_z
      - .offset:         120
        .size:           2
        .value_kind:     hidden_grid_dims
    .group_segment_fixed_size: 0
    .kernarg_segment_align: 8
    .kernarg_segment_size: 312
    .language:       OpenCL C
    .language_version:
      - 2
      - 0
    .max_flat_workgroup_size: 1024
    .name:           _ZL8norm_f32ILi32EEvPKfPfilllf
    .private_segment_fixed_size: 0
    .sgpr_count:     40
    .sgpr_spill_count: 0
    .symbol:         _ZL8norm_f32ILi32EEvPKfPfilllf.kd
    .uniform_work_group_size: 1
    .uses_dynamic_stack: false
    .vgpr_count:     15
    .vgpr_spill_count: 0
    .wavefront_size: 64
  - .args:
      - .address_space:  global
        .offset:         0
        .size:           8
        .value_kind:     global_buffer
      - .address_space:  global
        .offset:         8
        .size:           8
        .value_kind:     global_buffer
      - .offset:         16
        .size:           4
        .value_kind:     by_value
      - .offset:         24
        .size:           8
        .value_kind:     by_value
      - .offset:         32
        .size:           8
        .value_kind:     by_value
      - .offset:         40
        .size:           8
        .value_kind:     by_value
      - .offset:         48
        .size:           4
        .value_kind:     by_value
      - .offset:         56
        .size:           4
        .value_kind:     hidden_block_count_x
      - .offset:         60
        .size:           4
        .value_kind:     hidden_block_count_y
      - .offset:         64
        .size:           4
        .value_kind:     hidden_block_count_z
      - .offset:         68
        .size:           2
        .value_kind:     hidden_group_size_x
      - .offset:         70
        .size:           2
        .value_kind:     hidden_group_size_y
      - .offset:         72
        .size:           2
        .value_kind:     hidden_group_size_z
      - .offset:         74
        .size:           2
        .value_kind:     hidden_remainder_x
      - .offset:         76
        .size:           2
        .value_kind:     hidden_remainder_y
      - .offset:         78
        .size:           2
        .value_kind:     hidden_remainder_z
      - .offset:         96
        .size:           8
        .value_kind:     hidden_global_offset_x
      - .offset:         104
        .size:           8
        .value_kind:     hidden_global_offset_y
      - .offset:         112
        .size:           8
        .value_kind:     hidden_global_offset_z
      - .offset:         120
        .size:           2
        .value_kind:     hidden_grid_dims
      - .offset:         176
        .size:           4
        .value_kind:     hidden_dynamic_lds_size
    .group_segment_fixed_size: 0
    .kernarg_segment_align: 8
    .kernarg_segment_size: 312
    .language:       OpenCL C
    .language_version:
      - 2
      - 0
    .max_flat_workgroup_size: 1024
    .name:           _ZL8norm_f32ILi1024EEvPKfPfilllf
    .private_segment_fixed_size: 0
    .sgpr_count:     40
    .sgpr_spill_count: 0
    .symbol:         _ZL8norm_f32ILi1024EEvPKfPfilllf.kd
    .uniform_work_group_size: 1
    .uses_dynamic_stack: false
    .vgpr_count:     15
    .vgpr_spill_count: 0
    .wavefront_size: 64
  - .args:
      - .address_space:  global
        .offset:         0
        .size:           8
        .value_kind:     global_buffer
      - .address_space:  global
        .offset:         8
        .size:           8
        .value_kind:     global_buffer
      - .offset:         16
        .size:           4
        .value_kind:     by_value
      - .offset:         20
        .size:           4
        .value_kind:     by_value
      - .offset:         24
        .size:           4
        .value_kind:     by_value
    .group_segment_fixed_size: 0
    .kernarg_segment_align: 8
    .kernarg_segment_size: 28
    .language:       OpenCL C
    .language_version:
      - 2
      - 0
    .max_flat_workgroup_size: 1024
    .name:           _ZL14group_norm_f32ILi32EEvPKfPfiif
    .private_segment_fixed_size: 0
    .sgpr_count:     20
    .sgpr_spill_count: 0
    .symbol:         _ZL14group_norm_f32ILi32EEvPKfPfiif.kd
    .uniform_work_group_size: 1
    .uses_dynamic_stack: false
    .vgpr_count:     17
    .vgpr_spill_count: 0
    .wavefront_size: 64
  - .args:
      - .address_space:  global
        .offset:         0
        .size:           8
        .value_kind:     global_buffer
      - .address_space:  global
        .offset:         8
        .size:           8
        .value_kind:     global_buffer
      - .offset:         16
        .size:           4
        .value_kind:     by_value
      - .offset:         20
        .size:           4
        .value_kind:     by_value
      - .offset:         24
        .size:           4
        .value_kind:     by_value
    .group_segment_fixed_size: 0
    .kernarg_segment_align: 8
    .kernarg_segment_size: 28
    .language:       OpenCL C
    .language_version:
      - 2
      - 0
    .max_flat_workgroup_size: 1024
    .name:           _ZL14group_norm_f32ILi1024EEvPKfPfiif
    .private_segment_fixed_size: 0
    .sgpr_count:     20
    .sgpr_spill_count: 0
    .symbol:         _ZL14group_norm_f32ILi1024EEvPKfPfiif.kd
    .uniform_work_group_size: 1
    .uses_dynamic_stack: false
    .vgpr_count:     19
    .vgpr_spill_count: 0
    .wavefront_size: 64
  - .args:
      - .address_space:  global
        .offset:         0
        .size:           8
        .value_kind:     global_buffer
      - .address_space:  global
        .offset:         8
        .size:           8
        .value_kind:     global_buffer
      - .offset:         16
        .size:           4
        .value_kind:     by_value
      - .offset:         24
        .size:           8
        .value_kind:     by_value
      - .offset:         32
        .size:           8
        .value_kind:     by_value
      - .offset:         40
        .size:           8
        .value_kind:     by_value
      - .offset:         48
        .size:           4
        .value_kind:     by_value
      - .address_space:  global
        .offset:         56
        .size:           8
        .value_kind:     global_buffer
      - .offset:         64
        .size:           8
        .value_kind:     by_value
      - .offset:         72
        .size:           8
        .value_kind:     by_value
      - .offset:         80
        .size:           8
        .value_kind:     by_value
      - .offset:         88
        .size:           12
        .value_kind:     by_value
      - .offset:         100
        .size:           12
        .value_kind:     by_value
      - .offset:         112
        .size:           12
        .value_kind:     by_value
      - .offset:         124
        .size:           12
        .value_kind:     by_value
      - .address_space:  global
        .offset:         136
        .size:           8
        .value_kind:     global_buffer
      - .offset:         144
        .size:           8
        .value_kind:     by_value
      - .offset:         152
        .size:           8
        .value_kind:     by_value
      - .offset:         160
        .size:           8
        .value_kind:     by_value
      - .offset:         168
        .size:           12
        .value_kind:     by_value
      - .offset:         180
        .size:           12
        .value_kind:     by_value
      - .offset:         192
        .size:           12
        .value_kind:     by_value
      - .offset:         204
        .size:           12
        .value_kind:     by_value
      - .offset:         216
        .size:           4
        .value_kind:     hidden_block_count_x
      - .offset:         220
        .size:           4
        .value_kind:     hidden_block_count_y
      - .offset:         224
        .size:           4
        .value_kind:     hidden_block_count_z
      - .offset:         228
        .size:           2
        .value_kind:     hidden_group_size_x
      - .offset:         230
        .size:           2
        .value_kind:     hidden_group_size_y
      - .offset:         232
        .size:           2
        .value_kind:     hidden_group_size_z
      - .offset:         234
        .size:           2
        .value_kind:     hidden_remainder_x
      - .offset:         236
        .size:           2
        .value_kind:     hidden_remainder_y
      - .offset:         238
        .size:           2
        .value_kind:     hidden_remainder_z
      - .offset:         256
        .size:           8
        .value_kind:     hidden_global_offset_x
      - .offset:         264
        .size:           8
        .value_kind:     hidden_global_offset_y
      - .offset:         272
        .size:           8
        .value_kind:     hidden_global_offset_z
      - .offset:         280
        .size:           2
        .value_kind:     hidden_grid_dims
      - .offset:         336
        .size:           4
        .value_kind:     hidden_dynamic_lds_size
    .group_segment_fixed_size: 0
    .kernarg_segment_align: 8
    .kernarg_segment_size: 472
    .language:       OpenCL C
    .language_version:
      - 2
      - 0
    .max_flat_workgroup_size: 1024
    .name:           _ZL12rms_norm_f32ILi256ELb0ELb0EEvPKfPfilllfS1_lll15HIP_vector_typeIjLj3EES4_S4_S4_S1_lllS4_S4_S4_S4_
    .private_segment_fixed_size: 0
    .sgpr_count:     40
    .sgpr_spill_count: 0
    .symbol:         _ZL12rms_norm_f32ILi256ELb0ELb0EEvPKfPfilllfS1_lll15HIP_vector_typeIjLj3EES4_S4_S4_S1_lllS4_S4_S4_S4_.kd
    .uniform_work_group_size: 1
    .uses_dynamic_stack: false
    .vgpr_count:     11
    .vgpr_spill_count: 0
    .wavefront_size: 64
  - .args:
      - .address_space:  global
        .offset:         0
        .size:           8
        .value_kind:     global_buffer
      - .address_space:  global
        .offset:         8
        .size:           8
        .value_kind:     global_buffer
      - .offset:         16
        .size:           4
        .value_kind:     by_value
      - .offset:         24
        .size:           8
        .value_kind:     by_value
      - .offset:         32
        .size:           8
        .value_kind:     by_value
      - .offset:         40
        .size:           8
        .value_kind:     by_value
      - .offset:         48
        .size:           4
        .value_kind:     by_value
      - .address_space:  global
        .offset:         56
        .size:           8
        .value_kind:     global_buffer
      - .offset:         64
        .size:           8
        .value_kind:     by_value
      - .offset:         72
        .size:           8
        .value_kind:     by_value
      - .offset:         80
        .size:           8
        .value_kind:     by_value
      - .offset:         88
        .size:           12
        .value_kind:     by_value
      - .offset:         100
        .size:           12
        .value_kind:     by_value
      - .offset:         112
        .size:           12
        .value_kind:     by_value
      - .offset:         124
        .size:           12
        .value_kind:     by_value
      - .address_space:  global
        .offset:         136
        .size:           8
        .value_kind:     global_buffer
      - .offset:         144
        .size:           8
        .value_kind:     by_value
      - .offset:         152
        .size:           8
        .value_kind:     by_value
      - .offset:         160
        .size:           8
        .value_kind:     by_value
      - .offset:         168
        .size:           12
        .value_kind:     by_value
      - .offset:         180
        .size:           12
        .value_kind:     by_value
      - .offset:         192
        .size:           12
        .value_kind:     by_value
      - .offset:         204
        .size:           12
        .value_kind:     by_value
      - .offset:         216
        .size:           4
        .value_kind:     hidden_block_count_x
      - .offset:         220
        .size:           4
        .value_kind:     hidden_block_count_y
      - .offset:         224
        .size:           4
        .value_kind:     hidden_block_count_z
      - .offset:         228
        .size:           2
        .value_kind:     hidden_group_size_x
      - .offset:         230
        .size:           2
        .value_kind:     hidden_group_size_y
      - .offset:         232
        .size:           2
        .value_kind:     hidden_group_size_z
      - .offset:         234
        .size:           2
        .value_kind:     hidden_remainder_x
      - .offset:         236
        .size:           2
        .value_kind:     hidden_remainder_y
      - .offset:         238
        .size:           2
        .value_kind:     hidden_remainder_z
      - .offset:         256
        .size:           8
        .value_kind:     hidden_global_offset_x
      - .offset:         264
        .size:           8
        .value_kind:     hidden_global_offset_y
      - .offset:         272
        .size:           8
        .value_kind:     hidden_global_offset_z
      - .offset:         280
        .size:           2
        .value_kind:     hidden_grid_dims
      - .offset:         336
        .size:           4
        .value_kind:     hidden_dynamic_lds_size
    .group_segment_fixed_size: 0
    .kernarg_segment_align: 8
    .kernarg_segment_size: 472
    .language:       OpenCL C
    .language_version:
      - 2
      - 0
    .max_flat_workgroup_size: 1024
    .name:           _ZL12rms_norm_f32ILi1024ELb0ELb0EEvPKfPfilllfS1_lll15HIP_vector_typeIjLj3EES4_S4_S4_S1_lllS4_S4_S4_S4_
    .private_segment_fixed_size: 0
    .sgpr_count:     40
    .sgpr_spill_count: 0
    .symbol:         _ZL12rms_norm_f32ILi1024ELb0ELb0EEvPKfPfilllfS1_lll15HIP_vector_typeIjLj3EES4_S4_S4_S1_lllS4_S4_S4_S4_.kd
    .uniform_work_group_size: 1
    .uses_dynamic_stack: false
    .vgpr_count:     11
    .vgpr_spill_count: 0
    .wavefront_size: 64
  - .args:
      - .address_space:  global
        .offset:         0
        .size:           8
        .value_kind:     global_buffer
      - .address_space:  global
        .offset:         8
        .size:           8
        .value_kind:     global_buffer
      - .offset:         16
        .size:           4
        .value_kind:     by_value
      - .offset:         24
        .size:           8
        .value_kind:     by_value
      - .offset:         32
        .size:           8
        .value_kind:     by_value
      - .offset:         40
        .size:           8
        .value_kind:     by_value
      - .offset:         48
        .size:           4
        .value_kind:     by_value
      - .address_space:  global
        .offset:         56
        .size:           8
        .value_kind:     global_buffer
      - .offset:         64
        .size:           8
        .value_kind:     by_value
      - .offset:         72
        .size:           8
        .value_kind:     by_value
      - .offset:         80
        .size:           8
        .value_kind:     by_value
      - .offset:         88
        .size:           12
        .value_kind:     by_value
      - .offset:         100
        .size:           12
        .value_kind:     by_value
      - .offset:         112
        .size:           12
        .value_kind:     by_value
      - .offset:         124
        .size:           12
        .value_kind:     by_value
      - .address_space:  global
        .offset:         136
        .size:           8
        .value_kind:     global_buffer
      - .offset:         144
        .size:           8
        .value_kind:     by_value
      - .offset:         152
        .size:           8
        .value_kind:     by_value
      - .offset:         160
        .size:           8
        .value_kind:     by_value
      - .offset:         168
        .size:           12
        .value_kind:     by_value
      - .offset:         180
        .size:           12
        .value_kind:     by_value
      - .offset:         192
        .size:           12
        .value_kind:     by_value
      - .offset:         204
        .size:           12
        .value_kind:     by_value
      - .offset:         216
        .size:           4
        .value_kind:     hidden_block_count_x
      - .offset:         220
        .size:           4
        .value_kind:     hidden_block_count_y
      - .offset:         224
        .size:           4
        .value_kind:     hidden_block_count_z
      - .offset:         228
        .size:           2
        .value_kind:     hidden_group_size_x
      - .offset:         230
        .size:           2
        .value_kind:     hidden_group_size_y
      - .offset:         232
        .size:           2
        .value_kind:     hidden_group_size_z
      - .offset:         234
        .size:           2
        .value_kind:     hidden_remainder_x
      - .offset:         236
        .size:           2
        .value_kind:     hidden_remainder_y
      - .offset:         238
        .size:           2
        .value_kind:     hidden_remainder_z
      - .offset:         256
        .size:           8
        .value_kind:     hidden_global_offset_x
      - .offset:         264
        .size:           8
        .value_kind:     hidden_global_offset_y
      - .offset:         272
        .size:           8
        .value_kind:     hidden_global_offset_z
      - .offset:         280
        .size:           2
        .value_kind:     hidden_grid_dims
      - .offset:         336
        .size:           4
        .value_kind:     hidden_dynamic_lds_size
    .group_segment_fixed_size: 0
    .kernarg_segment_align: 8
    .kernarg_segment_size: 472
    .language:       OpenCL C
    .language_version:
      - 2
      - 0
    .max_flat_workgroup_size: 1024
    .name:           _ZL12rms_norm_f32ILi256ELb1ELb0EEvPKfPfilllfS1_lll15HIP_vector_typeIjLj3EES4_S4_S4_S1_lllS4_S4_S4_S4_
    .private_segment_fixed_size: 0
    .sgpr_count:     54
    .sgpr_spill_count: 0
    .symbol:         _ZL12rms_norm_f32ILi256ELb1ELb0EEvPKfPfilllfS1_lll15HIP_vector_typeIjLj3EES4_S4_S4_S1_lllS4_S4_S4_S4_.kd
    .uniform_work_group_size: 1
    .uses_dynamic_stack: false
    .vgpr_count:     12
    .vgpr_spill_count: 0
    .wavefront_size: 64
  - .args:
      - .address_space:  global
        .offset:         0
        .size:           8
        .value_kind:     global_buffer
      - .address_space:  global
        .offset:         8
        .size:           8
        .value_kind:     global_buffer
      - .offset:         16
        .size:           4
        .value_kind:     by_value
      - .offset:         24
        .size:           8
        .value_kind:     by_value
      - .offset:         32
        .size:           8
        .value_kind:     by_value
      - .offset:         40
        .size:           8
        .value_kind:     by_value
      - .offset:         48
        .size:           4
        .value_kind:     by_value
      - .address_space:  global
        .offset:         56
        .size:           8
        .value_kind:     global_buffer
      - .offset:         64
        .size:           8
        .value_kind:     by_value
      - .offset:         72
        .size:           8
        .value_kind:     by_value
      - .offset:         80
        .size:           8
        .value_kind:     by_value
      - .offset:         88
        .size:           12
        .value_kind:     by_value
      - .offset:         100
        .size:           12
        .value_kind:     by_value
      - .offset:         112
        .size:           12
        .value_kind:     by_value
      - .offset:         124
        .size:           12
        .value_kind:     by_value
      - .address_space:  global
        .offset:         136
        .size:           8
        .value_kind:     global_buffer
      - .offset:         144
        .size:           8
        .value_kind:     by_value
      - .offset:         152
        .size:           8
        .value_kind:     by_value
      - .offset:         160
        .size:           8
        .value_kind:     by_value
      - .offset:         168
        .size:           12
        .value_kind:     by_value
      - .offset:         180
        .size:           12
        .value_kind:     by_value
      - .offset:         192
        .size:           12
        .value_kind:     by_value
      - .offset:         204
        .size:           12
        .value_kind:     by_value
      - .offset:         216
        .size:           4
        .value_kind:     hidden_block_count_x
      - .offset:         220
        .size:           4
        .value_kind:     hidden_block_count_y
      - .offset:         224
        .size:           4
        .value_kind:     hidden_block_count_z
      - .offset:         228
        .size:           2
        .value_kind:     hidden_group_size_x
      - .offset:         230
        .size:           2
        .value_kind:     hidden_group_size_y
      - .offset:         232
        .size:           2
        .value_kind:     hidden_group_size_z
      - .offset:         234
        .size:           2
        .value_kind:     hidden_remainder_x
      - .offset:         236
        .size:           2
        .value_kind:     hidden_remainder_y
      - .offset:         238
        .size:           2
        .value_kind:     hidden_remainder_z
      - .offset:         256
        .size:           8
        .value_kind:     hidden_global_offset_x
      - .offset:         264
        .size:           8
        .value_kind:     hidden_global_offset_y
      - .offset:         272
        .size:           8
        .value_kind:     hidden_global_offset_z
      - .offset:         280
        .size:           2
        .value_kind:     hidden_grid_dims
      - .offset:         336
        .size:           4
        .value_kind:     hidden_dynamic_lds_size
    .group_segment_fixed_size: 0
    .kernarg_segment_align: 8
    .kernarg_segment_size: 472
    .language:       OpenCL C
    .language_version:
      - 2
      - 0
    .max_flat_workgroup_size: 1024
    .name:           _ZL12rms_norm_f32ILi1024ELb1ELb0EEvPKfPfilllfS1_lll15HIP_vector_typeIjLj3EES4_S4_S4_S1_lllS4_S4_S4_S4_
    .private_segment_fixed_size: 0
    .sgpr_count:     55
    .sgpr_spill_count: 0
    .symbol:         _ZL12rms_norm_f32ILi1024ELb1ELb0EEvPKfPfilllfS1_lll15HIP_vector_typeIjLj3EES4_S4_S4_S1_lllS4_S4_S4_S4_.kd
    .uniform_work_group_size: 1
    .uses_dynamic_stack: false
    .vgpr_count:     12
    .vgpr_spill_count: 0
    .wavefront_size: 64
  - .args:
      - .address_space:  global
        .offset:         0
        .size:           8
        .value_kind:     global_buffer
      - .address_space:  global
        .offset:         8
        .size:           8
        .value_kind:     global_buffer
      - .offset:         16
        .size:           4
        .value_kind:     by_value
      - .offset:         24
        .size:           8
        .value_kind:     by_value
      - .offset:         32
        .size:           8
        .value_kind:     by_value
      - .offset:         40
        .size:           8
        .value_kind:     by_value
      - .offset:         48
        .size:           4
        .value_kind:     by_value
      - .address_space:  global
        .offset:         56
        .size:           8
        .value_kind:     global_buffer
      - .offset:         64
        .size:           8
        .value_kind:     by_value
      - .offset:         72
        .size:           8
        .value_kind:     by_value
      - .offset:         80
        .size:           8
        .value_kind:     by_value
      - .offset:         88
        .size:           12
        .value_kind:     by_value
      - .offset:         100
        .size:           12
        .value_kind:     by_value
      - .offset:         112
        .size:           12
        .value_kind:     by_value
      - .offset:         124
        .size:           12
        .value_kind:     by_value
      - .address_space:  global
        .offset:         136
        .size:           8
        .value_kind:     global_buffer
      - .offset:         144
        .size:           8
        .value_kind:     by_value
      - .offset:         152
        .size:           8
        .value_kind:     by_value
      - .offset:         160
        .size:           8
        .value_kind:     by_value
      - .offset:         168
        .size:           12
        .value_kind:     by_value
      - .offset:         180
        .size:           12
        .value_kind:     by_value
      - .offset:         192
        .size:           12
        .value_kind:     by_value
      - .offset:         204
        .size:           12
        .value_kind:     by_value
      - .offset:         216
        .size:           4
        .value_kind:     hidden_block_count_x
      - .offset:         220
        .size:           4
        .value_kind:     hidden_block_count_y
      - .offset:         224
        .size:           4
        .value_kind:     hidden_block_count_z
      - .offset:         228
        .size:           2
        .value_kind:     hidden_group_size_x
      - .offset:         230
        .size:           2
        .value_kind:     hidden_group_size_y
      - .offset:         232
        .size:           2
        .value_kind:     hidden_group_size_z
      - .offset:         234
        .size:           2
        .value_kind:     hidden_remainder_x
      - .offset:         236
        .size:           2
        .value_kind:     hidden_remainder_y
      - .offset:         238
        .size:           2
        .value_kind:     hidden_remainder_z
      - .offset:         256
        .size:           8
        .value_kind:     hidden_global_offset_x
      - .offset:         264
        .size:           8
        .value_kind:     hidden_global_offset_y
      - .offset:         272
        .size:           8
        .value_kind:     hidden_global_offset_z
      - .offset:         280
        .size:           2
        .value_kind:     hidden_grid_dims
      - .offset:         336
        .size:           4
        .value_kind:     hidden_dynamic_lds_size
    .group_segment_fixed_size: 0
    .kernarg_segment_align: 8
    .kernarg_segment_size: 472
    .language:       OpenCL C
    .language_version:
      - 2
      - 0
    .max_flat_workgroup_size: 1024
    .name:           _ZL12rms_norm_f32ILi256ELb1ELb1EEvPKfPfilllfS1_lll15HIP_vector_typeIjLj3EES4_S4_S4_S1_lllS4_S4_S4_S4_
    .private_segment_fixed_size: 0
    .sgpr_count:     66
    .sgpr_spill_count: 0
    .symbol:         _ZL12rms_norm_f32ILi256ELb1ELb1EEvPKfPfilllfS1_lll15HIP_vector_typeIjLj3EES4_S4_S4_S1_lllS4_S4_S4_S4_.kd
    .uniform_work_group_size: 1
    .uses_dynamic_stack: false
    .vgpr_count:     17
    .vgpr_spill_count: 0
    .wavefront_size: 64
  - .args:
      - .address_space:  global
        .offset:         0
        .size:           8
        .value_kind:     global_buffer
      - .address_space:  global
        .offset:         8
        .size:           8
        .value_kind:     global_buffer
      - .offset:         16
        .size:           4
        .value_kind:     by_value
      - .offset:         24
        .size:           8
        .value_kind:     by_value
      - .offset:         32
        .size:           8
        .value_kind:     by_value
      - .offset:         40
        .size:           8
        .value_kind:     by_value
      - .offset:         48
        .size:           4
        .value_kind:     by_value
      - .address_space:  global
        .offset:         56
        .size:           8
        .value_kind:     global_buffer
      - .offset:         64
        .size:           8
        .value_kind:     by_value
      - .offset:         72
        .size:           8
        .value_kind:     by_value
      - .offset:         80
        .size:           8
        .value_kind:     by_value
      - .offset:         88
        .size:           12
        .value_kind:     by_value
      - .offset:         100
        .size:           12
        .value_kind:     by_value
      - .offset:         112
        .size:           12
        .value_kind:     by_value
      - .offset:         124
        .size:           12
        .value_kind:     by_value
      - .address_space:  global
        .offset:         136
        .size:           8
        .value_kind:     global_buffer
      - .offset:         144
        .size:           8
        .value_kind:     by_value
      - .offset:         152
        .size:           8
        .value_kind:     by_value
      - .offset:         160
        .size:           8
        .value_kind:     by_value
      - .offset:         168
        .size:           12
        .value_kind:     by_value
      - .offset:         180
        .size:           12
        .value_kind:     by_value
      - .offset:         192
        .size:           12
        .value_kind:     by_value
      - .offset:         204
        .size:           12
        .value_kind:     by_value
      - .offset:         216
        .size:           4
        .value_kind:     hidden_block_count_x
      - .offset:         220
        .size:           4
        .value_kind:     hidden_block_count_y
      - .offset:         224
        .size:           4
        .value_kind:     hidden_block_count_z
      - .offset:         228
        .size:           2
        .value_kind:     hidden_group_size_x
      - .offset:         230
        .size:           2
        .value_kind:     hidden_group_size_y
      - .offset:         232
        .size:           2
        .value_kind:     hidden_group_size_z
      - .offset:         234
        .size:           2
        .value_kind:     hidden_remainder_x
      - .offset:         236
        .size:           2
        .value_kind:     hidden_remainder_y
      - .offset:         238
        .size:           2
        .value_kind:     hidden_remainder_z
      - .offset:         256
        .size:           8
        .value_kind:     hidden_global_offset_x
      - .offset:         264
        .size:           8
        .value_kind:     hidden_global_offset_y
      - .offset:         272
        .size:           8
        .value_kind:     hidden_global_offset_z
      - .offset:         280
        .size:           2
        .value_kind:     hidden_grid_dims
      - .offset:         336
        .size:           4
        .value_kind:     hidden_dynamic_lds_size
    .group_segment_fixed_size: 0
    .kernarg_segment_align: 8
    .kernarg_segment_size: 472
    .language:       OpenCL C
    .language_version:
      - 2
      - 0
    .max_flat_workgroup_size: 1024
    .name:           _ZL12rms_norm_f32ILi1024ELb1ELb1EEvPKfPfilllfS1_lll15HIP_vector_typeIjLj3EES4_S4_S4_S1_lllS4_S4_S4_S4_
    .private_segment_fixed_size: 0
    .sgpr_count:     72
    .sgpr_spill_count: 0
    .symbol:         _ZL12rms_norm_f32ILi1024ELb1ELb1EEvPKfPfilllfS1_lll15HIP_vector_typeIjLj3EES4_S4_S4_S1_lllS4_S4_S4_S4_.kd
    .uniform_work_group_size: 1
    .uses_dynamic_stack: false
    .vgpr_count:     17
    .vgpr_spill_count: 0
    .wavefront_size: 64
  - .args:
      - .address_space:  global
        .offset:         0
        .size:           8
        .value_kind:     global_buffer
      - .address_space:  global
        .offset:         8
        .size:           8
        .value_kind:     global_buffer
      - .address_space:  global
        .offset:         16
        .size:           8
        .value_kind:     global_buffer
      - .offset:         24
        .size:           4
        .value_kind:     by_value
      - .offset:         28
        .size:           4
        .value_kind:     by_value
      - .offset:         32
        .size:           4
        .value_kind:     hidden_block_count_x
      - .offset:         36
        .size:           4
        .value_kind:     hidden_block_count_y
      - .offset:         40
        .size:           4
        .value_kind:     hidden_block_count_z
      - .offset:         44
        .size:           2
        .value_kind:     hidden_group_size_x
      - .offset:         46
        .size:           2
        .value_kind:     hidden_group_size_y
      - .offset:         48
        .size:           2
        .value_kind:     hidden_group_size_z
      - .offset:         50
        .size:           2
        .value_kind:     hidden_remainder_x
      - .offset:         52
        .size:           2
        .value_kind:     hidden_remainder_y
      - .offset:         54
        .size:           2
        .value_kind:     hidden_remainder_z
      - .offset:         72
        .size:           8
        .value_kind:     hidden_global_offset_x
      - .offset:         80
        .size:           8
        .value_kind:     hidden_global_offset_y
      - .offset:         88
        .size:           8
        .value_kind:     hidden_global_offset_z
      - .offset:         96
        .size:           2
        .value_kind:     hidden_grid_dims
    .group_segment_fixed_size: 0
    .kernarg_segment_align: 8
    .kernarg_segment_size: 288
    .language:       OpenCL C
    .language_version:
      - 2
      - 0
    .max_flat_workgroup_size: 1024
    .name:           _ZL17rms_norm_back_f32ILi32EEvPKfS1_Pfif
    .private_segment_fixed_size: 0
    .sgpr_count:     20
    .sgpr_spill_count: 0
    .symbol:         _ZL17rms_norm_back_f32ILi32EEvPKfS1_Pfif.kd
    .uniform_work_group_size: 1
    .uses_dynamic_stack: false
    .vgpr_count:     15
    .vgpr_spill_count: 0
    .wavefront_size: 64
  - .args:
      - .address_space:  global
        .offset:         0
        .size:           8
        .value_kind:     global_buffer
      - .address_space:  global
        .offset:         8
        .size:           8
        .value_kind:     global_buffer
      - .address_space:  global
        .offset:         16
        .size:           8
        .value_kind:     global_buffer
      - .offset:         24
        .size:           4
        .value_kind:     by_value
      - .offset:         28
        .size:           4
        .value_kind:     by_value
      - .offset:         32
        .size:           4
        .value_kind:     hidden_block_count_x
      - .offset:         36
        .size:           4
        .value_kind:     hidden_block_count_y
      - .offset:         40
        .size:           4
        .value_kind:     hidden_block_count_z
      - .offset:         44
        .size:           2
        .value_kind:     hidden_group_size_x
      - .offset:         46
        .size:           2
        .value_kind:     hidden_group_size_y
      - .offset:         48
        .size:           2
        .value_kind:     hidden_group_size_z
      - .offset:         50
        .size:           2
        .value_kind:     hidden_remainder_x
      - .offset:         52
        .size:           2
        .value_kind:     hidden_remainder_y
      - .offset:         54
        .size:           2
        .value_kind:     hidden_remainder_z
      - .offset:         72
        .size:           8
        .value_kind:     hidden_global_offset_x
      - .offset:         80
        .size:           8
        .value_kind:     hidden_global_offset_y
      - .offset:         88
        .size:           8
        .value_kind:     hidden_global_offset_z
      - .offset:         96
        .size:           2
        .value_kind:     hidden_grid_dims
    .group_segment_fixed_size: 256
    .kernarg_segment_align: 8
    .kernarg_segment_size: 288
    .language:       OpenCL C
    .language_version:
      - 2
      - 0
    .max_flat_workgroup_size: 1024
    .name:           _ZL17rms_norm_back_f32ILi1024EEvPKfS1_Pfif
    .private_segment_fixed_size: 0
    .sgpr_count:     20
    .sgpr_spill_count: 0
    .symbol:         _ZL17rms_norm_back_f32ILi1024EEvPKfS1_Pfif.kd
    .uniform_work_group_size: 1
    .uses_dynamic_stack: false
    .vgpr_count:     15
    .vgpr_spill_count: 0
    .wavefront_size: 64
  - .args:
      - .address_space:  global
        .offset:         0
        .size:           8
        .value_kind:     global_buffer
      - .address_space:  global
        .offset:         8
        .size:           8
        .value_kind:     global_buffer
      - .offset:         16
        .size:           4
        .value_kind:     by_value
      - .offset:         24
        .size:           8
        .value_kind:     by_value
      - .offset:         32
        .size:           8
        .value_kind:     by_value
      - .offset:         40
        .size:           8
        .value_kind:     by_value
      - .offset:         48
        .size:           4
        .value_kind:     by_value
      - .offset:         56
        .size:           4
        .value_kind:     hidden_block_count_x
      - .offset:         60
        .size:           4
        .value_kind:     hidden_block_count_y
      - .offset:         64
        .size:           4
        .value_kind:     hidden_block_count_z
      - .offset:         68
        .size:           2
        .value_kind:     hidden_group_size_x
      - .offset:         70
        .size:           2
        .value_kind:     hidden_group_size_y
      - .offset:         72
        .size:           2
        .value_kind:     hidden_group_size_z
      - .offset:         74
        .size:           2
        .value_kind:     hidden_remainder_x
      - .offset:         76
        .size:           2
        .value_kind:     hidden_remainder_y
      - .offset:         78
        .size:           2
        .value_kind:     hidden_remainder_z
      - .offset:         96
        .size:           8
        .value_kind:     hidden_global_offset_x
      - .offset:         104
        .size:           8
        .value_kind:     hidden_global_offset_y
      - .offset:         112
        .size:           8
        .value_kind:     hidden_global_offset_z
      - .offset:         120
        .size:           2
        .value_kind:     hidden_grid_dims
    .group_segment_fixed_size: 0
    .kernarg_segment_align: 8
    .kernarg_segment_size: 312
    .language:       OpenCL C
    .language_version:
      - 2
      - 0
    .max_flat_workgroup_size: 1024
    .name:           _ZL11l2_norm_f32ILi32EEvPKfPfilllf
    .private_segment_fixed_size: 0
    .sgpr_count:     40
    .sgpr_spill_count: 0
    .symbol:         _ZL11l2_norm_f32ILi32EEvPKfPfilllf.kd
    .uniform_work_group_size: 1
    .uses_dynamic_stack: false
    .vgpr_count:     7
    .vgpr_spill_count: 0
    .wavefront_size: 64
  - .args:
      - .address_space:  global
        .offset:         0
        .size:           8
        .value_kind:     global_buffer
      - .address_space:  global
        .offset:         8
        .size:           8
        .value_kind:     global_buffer
      - .offset:         16
        .size:           4
        .value_kind:     by_value
      - .offset:         24
        .size:           8
        .value_kind:     by_value
      - .offset:         32
        .size:           8
        .value_kind:     by_value
      - .offset:         40
        .size:           8
        .value_kind:     by_value
      - .offset:         48
        .size:           4
        .value_kind:     by_value
      - .offset:         56
        .size:           4
        .value_kind:     hidden_block_count_x
      - .offset:         60
        .size:           4
        .value_kind:     hidden_block_count_y
      - .offset:         64
        .size:           4
        .value_kind:     hidden_block_count_z
      - .offset:         68
        .size:           2
        .value_kind:     hidden_group_size_x
      - .offset:         70
        .size:           2
        .value_kind:     hidden_group_size_y
      - .offset:         72
        .size:           2
        .value_kind:     hidden_group_size_z
      - .offset:         74
        .size:           2
        .value_kind:     hidden_remainder_x
      - .offset:         76
        .size:           2
        .value_kind:     hidden_remainder_y
      - .offset:         78
        .size:           2
        .value_kind:     hidden_remainder_z
      - .offset:         96
        .size:           8
        .value_kind:     hidden_global_offset_x
      - .offset:         104
        .size:           8
        .value_kind:     hidden_global_offset_y
      - .offset:         112
        .size:           8
        .value_kind:     hidden_global_offset_z
      - .offset:         120
        .size:           2
        .value_kind:     hidden_grid_dims
      - .offset:         176
        .size:           4
        .value_kind:     hidden_dynamic_lds_size
    .group_segment_fixed_size: 0
    .kernarg_segment_align: 8
    .kernarg_segment_size: 312
    .language:       OpenCL C
    .language_version:
      - 2
      - 0
    .max_flat_workgroup_size: 1024
    .name:           _ZL11l2_norm_f32ILi1024EEvPKfPfilllf
    .private_segment_fixed_size: 0
    .sgpr_count:     40
    .sgpr_spill_count: 0
    .symbol:         _ZL11l2_norm_f32ILi1024EEvPKfPfilllf.kd
    .uniform_work_group_size: 1
    .uses_dynamic_stack: false
    .vgpr_count:     11
    .vgpr_spill_count: 0
    .wavefront_size: 64
amdhsa.target:   amdgcn-amd-amdhsa--gfx906
amdhsa.version:
  - 1
  - 2
...

	.end_amdgpu_metadata
